;; amdgpu-corpus repo=ROCm/rocFFT kind=compiled arch=gfx1201 opt=O3
	.text
	.amdgcn_target "amdgcn-amd-amdhsa--gfx1201"
	.amdhsa_code_object_version 6
	.protected	fft_rtc_fwd_len1105_factors_17_13_5_wgs_255_tpt_85_halfLds_dp_ip_CI_unitstride_sbrr_dirReg ; -- Begin function fft_rtc_fwd_len1105_factors_17_13_5_wgs_255_tpt_85_halfLds_dp_ip_CI_unitstride_sbrr_dirReg
	.globl	fft_rtc_fwd_len1105_factors_17_13_5_wgs_255_tpt_85_halfLds_dp_ip_CI_unitstride_sbrr_dirReg
	.p2align	8
	.type	fft_rtc_fwd_len1105_factors_17_13_5_wgs_255_tpt_85_halfLds_dp_ip_CI_unitstride_sbrr_dirReg,@function
fft_rtc_fwd_len1105_factors_17_13_5_wgs_255_tpt_85_halfLds_dp_ip_CI_unitstride_sbrr_dirReg: ; @fft_rtc_fwd_len1105_factors_17_13_5_wgs_255_tpt_85_halfLds_dp_ip_CI_unitstride_sbrr_dirReg
; %bb.0:
	s_load_b128 s[4:7], s[0:1], 0x0
	v_mul_u32_u24_e32 v1, 0x304, v0
	s_clause 0x1
	s_load_b64 s[8:9], s[0:1], 0x50
	s_load_b64 s[10:11], s[0:1], 0x18
	v_mov_b32_e32 v3, 0
	v_lshrrev_b32_e32 v1, 16, v1
	s_delay_alu instid0(VALU_DEP_1) | instskip(SKIP_1) | instid1(VALU_DEP_4)
	v_mad_co_u64_u32 v[138:139], null, ttmp9, 3, v[1:2]
	v_mov_b32_e32 v1, 0
	v_dual_mov_b32 v2, 0 :: v_dual_mov_b32 v139, v3
	s_delay_alu instid0(VALU_DEP_1) | instskip(SKIP_2) | instid1(VALU_DEP_1)
	v_dual_mov_b32 v7, v138 :: v_dual_mov_b32 v8, v139
	s_wait_kmcnt 0x0
	v_cmp_lt_u64_e64 s2, s[6:7], 2
	s_and_b32 vcc_lo, exec_lo, s2
	s_cbranch_vccnz .LBB0_8
; %bb.1:
	s_load_b64 s[2:3], s[0:1], 0x10
	v_mov_b32_e32 v1, 0
	v_dual_mov_b32 v2, 0 :: v_dual_mov_b32 v5, v138
	v_mov_b32_e32 v6, v139
	s_add_nc_u64 s[12:13], s[10:11], 8
	s_mov_b64 s[14:15], 1
	s_wait_kmcnt 0x0
	s_add_nc_u64 s[16:17], s[2:3], 8
	s_mov_b32 s3, 0
.LBB0_2:                                ; =>This Inner Loop Header: Depth=1
	s_load_b64 s[18:19], s[16:17], 0x0
                                        ; implicit-def: $vgpr7_vgpr8
	s_mov_b32 s2, exec_lo
	s_wait_kmcnt 0x0
	v_or_b32_e32 v4, s19, v6
	s_delay_alu instid0(VALU_DEP_1)
	v_cmpx_ne_u64_e32 0, v[3:4]
	s_wait_alu 0xfffe
	s_xor_b32 s20, exec_lo, s2
	s_cbranch_execz .LBB0_4
; %bb.3:                                ;   in Loop: Header=BB0_2 Depth=1
	s_cvt_f32_u32 s2, s18
	s_cvt_f32_u32 s21, s19
	s_sub_nc_u64 s[24:25], 0, s[18:19]
	s_wait_alu 0xfffe
	s_delay_alu instid0(SALU_CYCLE_1) | instskip(SKIP_1) | instid1(SALU_CYCLE_2)
	s_fmamk_f32 s2, s21, 0x4f800000, s2
	s_wait_alu 0xfffe
	v_s_rcp_f32 s2, s2
	s_delay_alu instid0(TRANS32_DEP_1) | instskip(SKIP_1) | instid1(SALU_CYCLE_2)
	s_mul_f32 s2, s2, 0x5f7ffffc
	s_wait_alu 0xfffe
	s_mul_f32 s21, s2, 0x2f800000
	s_wait_alu 0xfffe
	s_delay_alu instid0(SALU_CYCLE_2) | instskip(SKIP_1) | instid1(SALU_CYCLE_2)
	s_trunc_f32 s21, s21
	s_wait_alu 0xfffe
	s_fmamk_f32 s2, s21, 0xcf800000, s2
	s_cvt_u32_f32 s23, s21
	s_wait_alu 0xfffe
	s_delay_alu instid0(SALU_CYCLE_1) | instskip(SKIP_1) | instid1(SALU_CYCLE_2)
	s_cvt_u32_f32 s22, s2
	s_wait_alu 0xfffe
	s_mul_u64 s[26:27], s[24:25], s[22:23]
	s_wait_alu 0xfffe
	s_mul_hi_u32 s29, s22, s27
	s_mul_i32 s28, s22, s27
	s_mul_hi_u32 s2, s22, s26
	s_mul_i32 s30, s23, s26
	s_wait_alu 0xfffe
	s_add_nc_u64 s[28:29], s[2:3], s[28:29]
	s_mul_hi_u32 s21, s23, s26
	s_mul_hi_u32 s31, s23, s27
	s_add_co_u32 s2, s28, s30
	s_wait_alu 0xfffe
	s_add_co_ci_u32 s2, s29, s21
	s_mul_i32 s26, s23, s27
	s_add_co_ci_u32 s27, s31, 0
	s_wait_alu 0xfffe
	s_add_nc_u64 s[26:27], s[2:3], s[26:27]
	s_wait_alu 0xfffe
	v_add_co_u32 v4, s2, s22, s26
	s_delay_alu instid0(VALU_DEP_1) | instskip(SKIP_1) | instid1(VALU_DEP_1)
	s_cmp_lg_u32 s2, 0
	s_add_co_ci_u32 s23, s23, s27
	v_readfirstlane_b32 s22, v4
	s_wait_alu 0xfffe
	s_delay_alu instid0(VALU_DEP_1)
	s_mul_u64 s[24:25], s[24:25], s[22:23]
	s_wait_alu 0xfffe
	s_mul_hi_u32 s27, s22, s25
	s_mul_i32 s26, s22, s25
	s_mul_hi_u32 s2, s22, s24
	s_mul_i32 s28, s23, s24
	s_wait_alu 0xfffe
	s_add_nc_u64 s[26:27], s[2:3], s[26:27]
	s_mul_hi_u32 s21, s23, s24
	s_mul_hi_u32 s22, s23, s25
	s_wait_alu 0xfffe
	s_add_co_u32 s2, s26, s28
	s_add_co_ci_u32 s2, s27, s21
	s_mul_i32 s24, s23, s25
	s_add_co_ci_u32 s25, s22, 0
	s_wait_alu 0xfffe
	s_add_nc_u64 s[24:25], s[2:3], s[24:25]
	s_wait_alu 0xfffe
	v_add_co_u32 v4, s2, v4, s24
	s_delay_alu instid0(VALU_DEP_1) | instskip(SKIP_1) | instid1(VALU_DEP_1)
	s_cmp_lg_u32 s2, 0
	s_add_co_ci_u32 s2, s23, s25
	v_mul_hi_u32 v13, v5, v4
	s_wait_alu 0xfffe
	v_mad_co_u64_u32 v[7:8], null, v5, s2, 0
	v_mad_co_u64_u32 v[9:10], null, v6, v4, 0
	;; [unrolled: 1-line block ×3, first 2 shown]
	s_delay_alu instid0(VALU_DEP_3) | instskip(SKIP_1) | instid1(VALU_DEP_4)
	v_add_co_u32 v4, vcc_lo, v13, v7
	s_wait_alu 0xfffd
	v_add_co_ci_u32_e32 v7, vcc_lo, 0, v8, vcc_lo
	s_delay_alu instid0(VALU_DEP_2) | instskip(SKIP_1) | instid1(VALU_DEP_2)
	v_add_co_u32 v4, vcc_lo, v4, v9
	s_wait_alu 0xfffd
	v_add_co_ci_u32_e32 v4, vcc_lo, v7, v10, vcc_lo
	s_wait_alu 0xfffd
	v_add_co_ci_u32_e32 v7, vcc_lo, 0, v12, vcc_lo
	s_delay_alu instid0(VALU_DEP_2) | instskip(SKIP_1) | instid1(VALU_DEP_2)
	v_add_co_u32 v4, vcc_lo, v4, v11
	s_wait_alu 0xfffd
	v_add_co_ci_u32_e32 v9, vcc_lo, 0, v7, vcc_lo
	s_delay_alu instid0(VALU_DEP_2) | instskip(SKIP_1) | instid1(VALU_DEP_3)
	v_mul_lo_u32 v10, s19, v4
	v_mad_co_u64_u32 v[7:8], null, s18, v4, 0
	v_mul_lo_u32 v11, s18, v9
	s_delay_alu instid0(VALU_DEP_2) | instskip(NEXT) | instid1(VALU_DEP_2)
	v_sub_co_u32 v7, vcc_lo, v5, v7
	v_add3_u32 v8, v8, v11, v10
	s_delay_alu instid0(VALU_DEP_1) | instskip(SKIP_1) | instid1(VALU_DEP_1)
	v_sub_nc_u32_e32 v10, v6, v8
	s_wait_alu 0xfffd
	v_subrev_co_ci_u32_e64 v10, s2, s19, v10, vcc_lo
	v_add_co_u32 v11, s2, v4, 2
	s_wait_alu 0xf1ff
	v_add_co_ci_u32_e64 v12, s2, 0, v9, s2
	v_sub_co_u32 v13, s2, v7, s18
	v_sub_co_ci_u32_e32 v8, vcc_lo, v6, v8, vcc_lo
	s_wait_alu 0xf1ff
	v_subrev_co_ci_u32_e64 v10, s2, 0, v10, s2
	s_delay_alu instid0(VALU_DEP_3) | instskip(NEXT) | instid1(VALU_DEP_3)
	v_cmp_le_u32_e32 vcc_lo, s18, v13
	v_cmp_eq_u32_e64 s2, s19, v8
	s_wait_alu 0xfffd
	v_cndmask_b32_e64 v13, 0, -1, vcc_lo
	v_cmp_le_u32_e32 vcc_lo, s19, v10
	s_wait_alu 0xfffd
	v_cndmask_b32_e64 v14, 0, -1, vcc_lo
	v_cmp_le_u32_e32 vcc_lo, s18, v7
	;; [unrolled: 3-line block ×3, first 2 shown]
	s_wait_alu 0xfffd
	v_cndmask_b32_e64 v15, 0, -1, vcc_lo
	v_cmp_eq_u32_e32 vcc_lo, s19, v10
	s_wait_alu 0xf1ff
	s_delay_alu instid0(VALU_DEP_2)
	v_cndmask_b32_e64 v7, v15, v7, s2
	s_wait_alu 0xfffd
	v_cndmask_b32_e32 v10, v14, v13, vcc_lo
	v_add_co_u32 v13, vcc_lo, v4, 1
	s_wait_alu 0xfffd
	v_add_co_ci_u32_e32 v14, vcc_lo, 0, v9, vcc_lo
	s_delay_alu instid0(VALU_DEP_3) | instskip(SKIP_2) | instid1(VALU_DEP_3)
	v_cmp_ne_u32_e32 vcc_lo, 0, v10
	s_wait_alu 0xfffd
	v_cndmask_b32_e32 v10, v13, v11, vcc_lo
	v_cndmask_b32_e32 v8, v14, v12, vcc_lo
	v_cmp_ne_u32_e32 vcc_lo, 0, v7
	s_wait_alu 0xfffd
	s_delay_alu instid0(VALU_DEP_2)
	v_dual_cndmask_b32 v7, v4, v10 :: v_dual_cndmask_b32 v8, v9, v8
.LBB0_4:                                ;   in Loop: Header=BB0_2 Depth=1
	s_wait_alu 0xfffe
	s_and_not1_saveexec_b32 s2, s20
	s_cbranch_execz .LBB0_6
; %bb.5:                                ;   in Loop: Header=BB0_2 Depth=1
	v_cvt_f32_u32_e32 v4, s18
	s_sub_co_i32 s20, 0, s18
	s_delay_alu instid0(VALU_DEP_1) | instskip(NEXT) | instid1(TRANS32_DEP_1)
	v_rcp_iflag_f32_e32 v4, v4
	v_mul_f32_e32 v4, 0x4f7ffffe, v4
	s_delay_alu instid0(VALU_DEP_1) | instskip(SKIP_1) | instid1(VALU_DEP_1)
	v_cvt_u32_f32_e32 v4, v4
	s_wait_alu 0xfffe
	v_mul_lo_u32 v7, s20, v4
	s_delay_alu instid0(VALU_DEP_1) | instskip(NEXT) | instid1(VALU_DEP_1)
	v_mul_hi_u32 v7, v4, v7
	v_add_nc_u32_e32 v4, v4, v7
	s_delay_alu instid0(VALU_DEP_1) | instskip(NEXT) | instid1(VALU_DEP_1)
	v_mul_hi_u32 v4, v5, v4
	v_mul_lo_u32 v7, v4, s18
	v_add_nc_u32_e32 v8, 1, v4
	s_delay_alu instid0(VALU_DEP_2) | instskip(NEXT) | instid1(VALU_DEP_1)
	v_sub_nc_u32_e32 v7, v5, v7
	v_subrev_nc_u32_e32 v9, s18, v7
	v_cmp_le_u32_e32 vcc_lo, s18, v7
	s_wait_alu 0xfffd
	s_delay_alu instid0(VALU_DEP_2) | instskip(NEXT) | instid1(VALU_DEP_1)
	v_dual_cndmask_b32 v7, v7, v9 :: v_dual_cndmask_b32 v4, v4, v8
	v_cmp_le_u32_e32 vcc_lo, s18, v7
	s_delay_alu instid0(VALU_DEP_2) | instskip(SKIP_1) | instid1(VALU_DEP_1)
	v_add_nc_u32_e32 v8, 1, v4
	s_wait_alu 0xfffd
	v_dual_cndmask_b32 v7, v4, v8 :: v_dual_mov_b32 v8, v3
.LBB0_6:                                ;   in Loop: Header=BB0_2 Depth=1
	s_wait_alu 0xfffe
	s_or_b32 exec_lo, exec_lo, s2
	s_load_b64 s[20:21], s[12:13], 0x0
	s_delay_alu instid0(VALU_DEP_1)
	v_mul_lo_u32 v4, v8, s18
	v_mul_lo_u32 v11, v7, s19
	v_mad_co_u64_u32 v[9:10], null, v7, s18, 0
	s_add_nc_u64 s[14:15], s[14:15], 1
	s_add_nc_u64 s[12:13], s[12:13], 8
	s_wait_alu 0xfffe
	v_cmp_ge_u64_e64 s2, s[14:15], s[6:7]
	s_add_nc_u64 s[16:17], s[16:17], 8
	s_delay_alu instid0(VALU_DEP_2) | instskip(NEXT) | instid1(VALU_DEP_3)
	v_add3_u32 v4, v10, v11, v4
	v_sub_co_u32 v5, vcc_lo, v5, v9
	s_wait_alu 0xfffd
	s_delay_alu instid0(VALU_DEP_2) | instskip(SKIP_3) | instid1(VALU_DEP_2)
	v_sub_co_ci_u32_e32 v4, vcc_lo, v6, v4, vcc_lo
	s_and_b32 vcc_lo, exec_lo, s2
	s_wait_kmcnt 0x0
	v_mul_lo_u32 v6, s21, v5
	v_mul_lo_u32 v4, s20, v4
	v_mad_co_u64_u32 v[1:2], null, s20, v5, v[1:2]
	s_delay_alu instid0(VALU_DEP_1)
	v_add3_u32 v2, v6, v2, v4
	s_wait_alu 0xfffe
	s_cbranch_vccnz .LBB0_8
; %bb.7:                                ;   in Loop: Header=BB0_2 Depth=1
	v_dual_mov_b32 v5, v7 :: v_dual_mov_b32 v6, v8
	s_branch .LBB0_2
.LBB0_8:
	s_lshl_b64 s[2:3], s[6:7], 3
	v_mul_hi_u32 v3, 0x3030304, v0
	s_wait_alu 0xfffe
	s_add_nc_u64 s[2:3], s[10:11], s[2:3]
                                        ; implicit-def: $vgpr12_vgpr13
                                        ; implicit-def: $vgpr16_vgpr17
                                        ; implicit-def: $vgpr20_vgpr21
                                        ; implicit-def: $vgpr24_vgpr25
                                        ; implicit-def: $vgpr28_vgpr29
                                        ; implicit-def: $vgpr36_vgpr37
                                        ; implicit-def: $vgpr40_vgpr41
                                        ; implicit-def: $vgpr44_vgpr45
                                        ; implicit-def: $vgpr48_vgpr49
                                        ; implicit-def: $vgpr72_vgpr73
                                        ; implicit-def: $vgpr68_vgpr69
                                        ; implicit-def: $vgpr64_vgpr65
                                        ; implicit-def: $vgpr60_vgpr61
                                        ; implicit-def: $vgpr56_vgpr57
                                        ; implicit-def: $vgpr52_vgpr53
                                        ; implicit-def: $vgpr32_vgpr33
	s_load_b64 s[2:3], s[2:3], 0x0
	s_load_b64 s[0:1], s[0:1], 0x20
	s_delay_alu instid0(VALU_DEP_1) | instskip(NEXT) | instid1(VALU_DEP_1)
	v_mul_u32_u24_e32 v3, 0x55, v3
	v_sub_nc_u32_e32 v98, v0, v3
	s_wait_kmcnt 0x0
	v_mul_lo_u32 v4, s2, v8
	v_mul_lo_u32 v5, s3, v7
	v_mad_co_u64_u32 v[1:2], null, s2, v7, v[1:2]
	v_cmp_gt_u64_e32 vcc_lo, s[0:1], v[7:8]
	v_cmp_gt_u32_e64 s0, 0x41, v98
                                        ; implicit-def: $vgpr8_vgpr9
	s_delay_alu instid0(VALU_DEP_1) | instskip(NEXT) | instid1(VALU_DEP_3)
	s_and_b32 s1, vcc_lo, s0
	v_add3_u32 v2, v5, v2, v4
	s_delay_alu instid0(VALU_DEP_1)
	v_lshlrev_b64_e32 v[100:101], 4, v[1:2]
	s_wait_alu 0xfffe
	s_and_saveexec_b32 s2, s1
; %bb.9:
	v_mov_b32_e32 v99, 0
	s_delay_alu instid0(VALU_DEP_2) | instskip(SKIP_2) | instid1(VALU_DEP_3)
	v_add_co_u32 v2, s1, s8, v100
	s_wait_alu 0xf1ff
	v_add_co_ci_u32_e64 v3, s1, s9, v101, s1
	v_lshlrev_b64_e32 v[0:1], 4, v[98:99]
	s_delay_alu instid0(VALU_DEP_1) | instskip(SKIP_1) | instid1(VALU_DEP_2)
	v_add_co_u32 v0, s1, v2, v0
	s_wait_alu 0xf1ff
	v_add_co_ci_u32_e64 v1, s1, v3, v1, s1
	s_clause 0x10
	global_load_b128 v[30:33], v[0:1], off
	global_load_b128 v[50:53], v[0:1], off offset:1040
	global_load_b128 v[54:57], v[0:1], off offset:2080
	;; [unrolled: 1-line block ×16, first 2 shown]
; %bb.10:
	s_wait_alu 0xfffe
	s_or_b32 exec_lo, exec_lo, s2
	s_wait_loadcnt 0x0
	v_add_f64_e32 v[82:83], v[6:7], v[50:51]
	s_mov_b32 s14, 0x2b2883cd
	s_mov_b32 s2, 0x3259b75e
	;; [unrolled: 1-line block ×4, first 2 shown]
	v_add_f64_e64 v[96:97], v[52:53], -v[8:9]
	v_add_f64_e32 v[84:85], v[10:11], v[54:55]
	s_mov_b32 s24, 0x7c9e640b
	s_mov_b32 s6, 0x6ed5f1bb
	;; [unrolled: 1-line block ×8, first 2 shown]
	v_add_f64_e64 v[120:121], v[56:57], -v[12:13]
	v_add_f64_e32 v[94:95], v[14:15], v[58:59]
	s_mov_b32 s26, 0x6c9a05f6
	s_mov_b32 s28, 0xacd6c6b4
	;; [unrolled: 1-line block ×6, first 2 shown]
	v_add_f64_e64 v[136:137], v[60:61], -v[16:17]
	v_add_f64_e32 v[92:93], v[18:19], v[62:63]
	s_mov_b32 s30, 0x923c349f
	s_mov_b32 s16, 0x370991
	;; [unrolled: 1-line block ×6, first 2 shown]
	v_add_f64_e64 v[118:119], v[64:65], -v[20:21]
	v_add_f64_e32 v[90:91], v[22:23], v[66:67]
	s_mov_b32 s38, 0x5d8e7cdc
	s_mov_b32 s10, 0x75d4884
	;; [unrolled: 1-line block ×4, first 2 shown]
	v_add_f64_e64 v[134:135], v[68:69], -v[24:25]
	s_wait_alu 0xfffe
	v_mul_f64_e32 v[108:109], s[14:15], v[82:83]
	v_mul_f64_e32 v[112:113], s[2:3], v[82:83]
	v_add_f64_e32 v[78:79], v[26:27], v[70:71]
	s_mov_b32 s34, 0x2a9d6da3
	s_mov_b32 s12, 0x910ea3b9
	;; [unrolled: 1-line block ×3, first 2 shown]
	v_mul_f64_e32 v[128:129], s[6:7], v[84:85]
	v_mul_f64_e32 v[130:131], s[18:19], v[84:85]
	s_mov_b32 s13, 0xbfeb34fa
	v_add_f64_e64 v[122:123], v[72:73], -v[28:29]
	s_mov_b32 s40, 0x4363dd80
	s_mov_b32 s43, 0xbfd71e95
	;; [unrolled: 1-line block ×4, first 2 shown]
	v_add_f64_e64 v[110:111], v[48:49], -v[36:37]
	s_mov_b32 s45, 0x3fe9895b
	v_mul_f64_e32 v[132:133], s[18:19], v[94:95]
	v_mul_f64_e32 v[139:140], s[20:21], v[94:95]
	s_mov_b32 s44, s26
	v_mul_hi_u32 v99, 0xaaaaaaab, v138
	v_mul_f64_e32 v[124:125], s[20:21], v[92:93]
	v_mul_f64_e32 v[126:127], s[16:17], v[92:93]
	s_delay_alu instid0(VALU_DEP_3) | instskip(SKIP_2) | instid1(VALU_DEP_3)
	v_lshrrev_b32_e32 v99, 1, v99
	v_mul_f64_e32 v[114:115], s[10:11], v[90:91]
	v_mul_f64_e32 v[116:117], s[14:15], v[90:91]
	v_lshl_add_u32 v99, v99, 1, v99
	v_fma_f64 v[0:1], v[96:97], s[24:25], v[108:109]
	v_fma_f64 v[2:3], v[96:97], s[22:23], v[112:113]
	v_mul_f64_e32 v[104:105], s[16:17], v[78:79]
	v_mul_f64_e32 v[106:107], s[12:13], v[78:79]
	v_sub_nc_u32_e32 v99, v138, v99
	v_fma_f64 v[4:5], v[120:121], s[26:27], v[128:129]
	v_fma_f64 v[74:75], v[120:121], s[28:29], v[130:131]
	s_delay_alu instid0(VALU_DEP_3) | instskip(NEXT) | instid1(VALU_DEP_1)
	v_mul_u32_u24_e32 v99, 0x451, v99
	v_lshlrev_b32_e32 v99, 3, v99
	v_fma_f64 v[76:77], v[136:137], s[36:37], v[132:133]
	v_fma_f64 v[80:81], v[136:137], s[30:31], v[139:140]
	;; [unrolled: 1-line block ×4, first 2 shown]
	v_add_f64_e32 v[0:1], v[30:31], v[0:1]
	v_add_f64_e32 v[2:3], v[30:31], v[2:3]
	v_fma_f64 v[102:103], v[122:123], s[42:43], v[104:105]
	v_fma_f64 v[141:142], v[122:123], s[40:41], v[106:107]
	s_delay_alu instid0(VALU_DEP_4) | instskip(NEXT) | instid1(VALU_DEP_4)
	v_add_f64_e32 v[0:1], v[4:5], v[0:1]
	v_add_f64_e32 v[2:3], v[74:75], v[2:3]
	v_fma_f64 v[74:75], v[118:119], s[30:31], v[124:125]
	v_add_f64_e32 v[4:5], v[34:35], v[46:47]
	s_delay_alu instid0(VALU_DEP_4) | instskip(NEXT) | instid1(VALU_DEP_4)
	v_add_f64_e32 v[0:1], v[76:77], v[0:1]
	v_add_f64_e32 v[2:3], v[80:81], v[2:3]
	v_fma_f64 v[76:77], v[134:135], s[34:35], v[114:115]
	s_delay_alu instid0(VALU_DEP_4) | instskip(NEXT) | instid1(VALU_DEP_4)
	v_mul_f64_e32 v[80:81], s[2:3], v[4:5]
	v_add_f64_e32 v[74:75], v[74:75], v[0:1]
	s_delay_alu instid0(VALU_DEP_4)
	v_add_f64_e32 v[2:3], v[86:87], v[2:3]
	v_add_f64_e32 v[0:1], v[38:39], v[42:43]
	v_mul_f64_e32 v[86:87], s[6:7], v[4:5]
	v_fma_f64 v[145:146], v[110:111], s[22:23], v[80:81]
	v_add_f64_e32 v[143:144], v[76:77], v[74:75]
	v_add_f64_e32 v[2:3], v[88:89], v[2:3]
	v_add_f64_e64 v[88:89], v[44:45], -v[40:41]
	v_mul_f64_e32 v[74:75], s[12:13], v[0:1]
	v_mul_f64_e32 v[76:77], s[10:11], v[0:1]
	v_fma_f64 v[147:148], v[110:111], s[44:45], v[86:87]
	v_add_f64_e32 v[102:103], v[102:103], v[143:144]
	v_add_f64_e32 v[2:3], v[141:142], v[2:3]
	v_fma_f64 v[141:142], v[88:89], s[40:41], v[74:75]
	v_fma_f64 v[143:144], v[88:89], s[34:35], v[76:77]
	s_delay_alu instid0(VALU_DEP_4) | instskip(NEXT) | instid1(VALU_DEP_4)
	v_add_f64_e32 v[102:103], v[145:146], v[102:103]
	v_add_f64_e32 v[2:3], v[147:148], v[2:3]
	s_delay_alu instid0(VALU_DEP_2) | instskip(NEXT) | instid1(VALU_DEP_2)
	v_add_f64_e32 v[102:103], v[141:142], v[102:103]
	v_add_f64_e32 v[2:3], v[143:144], v[2:3]
	s_and_saveexec_b32 s1, s0
	s_cbranch_execz .LBB0_12
; %bb.11:
	v_add_f64_e32 v[141:142], v[50:51], v[30:31]
	v_mul_f64_e32 v[143:144], s[28:29], v[96:97]
	v_mul_f64_e32 v[145:146], s[40:41], v[96:97]
	s_mov_b32 s47, 0xbfeec746
	v_mul_f64_e32 v[151:152], s[26:27], v[96:97]
	s_mov_b32 s46, s30
	v_mul_f64_e32 v[147:148], s[22:23], v[96:97]
	v_mul_f64_e32 v[149:150], s[24:25], v[96:97]
	s_mov_b32 s51, 0xbfe58eea
	s_mov_b32 s50, s34
	v_mul_f64_e32 v[153:154], s[42:43], v[96:97]
	v_mul_f64_e32 v[155:156], s[46:47], v[96:97]
	;; [unrolled: 1-line block ×3, first 2 shown]
	s_mov_b32 s49, 0x3feca52d
	s_mov_b32 s48, s24
	;; [unrolled: 1-line block ×4, first 2 shown]
	v_mul_f64_e32 v[157:158], s[30:31], v[136:137]
	v_mul_f64_e32 v[159:160], s[28:29], v[120:121]
	;; [unrolled: 1-line block ×17, first 2 shown]
	s_mov_b32 s53, 0x3fefdd0d
	s_mov_b32 s52, s22
	v_add_f64_e32 v[141:142], v[54:55], v[141:142]
	v_fma_f64 v[167:168], v[82:83], s[18:19], v[143:144]
	v_fma_f64 v[143:144], v[82:83], s[18:19], -v[143:144]
	v_fma_f64 v[171:172], v[82:83], s[12:13], v[145:146]
	v_fma_f64 v[145:146], v[82:83], s[12:13], -v[145:146]
	;; [unrolled: 2-line block ×3, first 2 shown]
	v_add_f64_e64 v[112:113], v[112:113], -v[147:148]
	v_add_f64_e64 v[108:109], v[108:109], -v[149:150]
	v_fma_f64 v[147:148], v[82:83], s[16:17], -v[153:154]
	v_fma_f64 v[149:150], v[82:83], s[20:21], -v[155:156]
	v_fma_f64 v[155:156], v[82:83], s[20:21], v[155:156]
	v_fma_f64 v[183:184], v[82:83], s[10:11], v[96:97]
	v_fma_f64 v[96:97], v[82:83], s[10:11], -v[96:97]
	v_fma_f64 v[82:83], v[82:83], s[16:17], v[153:154]
	v_mul_f64_e32 v[153:154], s[36:37], v[136:137]
	v_mul_f64_e32 v[136:137], s[24:25], v[136:137]
	v_add_f64_e64 v[138:139], v[139:140], -v[157:158]
	v_add_f64_e64 v[130:131], v[130:131], -v[159:160]
	v_fma_f64 v[157:158], v[84:85], s[16:17], v[163:164]
	v_fma_f64 v[159:160], v[84:85], s[16:17], -v[163:164]
	v_add_f64_e64 v[128:129], v[128:129], -v[161:162]
	v_fma_f64 v[161:162], v[84:85], s[20:21], v[165:166]
	v_fma_f64 v[165:166], v[84:85], s[20:21], -v[165:166]
	v_fma_f64 v[197:198], v[84:85], s[2:3], v[173:174]
	v_fma_f64 v[173:174], v[84:85], s[2:3], -v[173:174]
	v_fma_f64 v[199:200], v[84:85], s[10:11], v[175:176]
	v_fma_f64 v[201:202], v[84:85], s[12:13], v[120:121]
	v_fma_f64 v[120:121], v[84:85], s[12:13], -v[120:121]
	v_fma_f64 v[203:204], v[94:95], s[10:11], v[193:194]
	v_fma_f64 v[193:194], v[94:95], s[10:11], -v[193:194]
	;; [unrolled: 2-line block ×3, first 2 shown]
	v_add_f64_e64 v[126:127], v[126:127], -v[177:178]
	v_add_f64_e64 v[124:125], v[124:125], -v[179:180]
	v_fma_f64 v[177:178], v[92:93], s[10:11], v[187:188]
	v_fma_f64 v[179:180], v[92:93], s[10:11], -v[187:188]
	v_add_f64_e32 v[141:142], v[58:59], v[141:142]
	v_add_f64_e32 v[163:164], v[30:31], v[167:168]
	;; [unrolled: 1-line block ×3, first 2 shown]
	v_fma_f64 v[167:168], v[84:85], s[14:15], v[169:170]
	v_add_f64_e32 v[171:172], v[30:31], v[171:172]
	v_fma_f64 v[169:170], v[84:85], s[14:15], -v[169:170]
	v_add_f64_e32 v[145:146], v[30:31], v[145:146]
	v_fma_f64 v[84:85], v[84:85], s[10:11], -v[175:176]
	v_add_f64_e32 v[175:176], v[30:31], v[181:182]
	v_add_f64_e32 v[151:152], v[30:31], v[151:152]
	;; [unrolled: 1-line block ×10, first 2 shown]
	v_add_f64_e64 v[82:83], v[132:133], -v[153:154]
	v_fma_f64 v[132:133], v[94:95], s[12:13], v[185:186]
	v_fma_f64 v[153:154], v[94:95], s[12:13], -v[185:186]
	v_fma_f64 v[183:184], v[94:95], s[2:3], v[189:190]
	v_fma_f64 v[185:186], v[94:95], s[2:3], -v[189:190]
	;; [unrolled: 2-line block ×4, first 2 shown]
	v_mul_f64_e32 v[136:137], s[44:45], v[118:119]
	v_add_f64_e32 v[141:142], v[62:63], v[141:142]
	v_add_f64_e32 v[157:158], v[157:158], v[163:164]
	v_mul_f64_e32 v[163:164], s[40:41], v[118:119]
	v_add_f64_e32 v[167:168], v[167:168], v[171:172]
	v_mul_f64_e32 v[171:172], s[28:29], v[118:119]
	v_add_f64_e32 v[161:162], v[161:162], v[175:176]
	v_add_f64_e32 v[151:152], v[165:166], v[151:152]
	;; [unrolled: 1-line block ×10, first 2 shown]
	v_mul_f64_e32 v[148:149], s[26:27], v[134:135]
	v_mul_f64_e32 v[155:156], s[42:43], v[134:135]
	;; [unrolled: 1-line block ×5, first 2 shown]
	v_fma_f64 v[181:182], v[92:93], s[6:7], v[136:137]
	v_fma_f64 v[136:137], v[92:93], s[6:7], -v[136:137]
	v_add_f64_e32 v[141:142], v[66:67], v[141:142]
	v_fma_f64 v[187:188], v[92:93], s[12:13], v[163:164]
	v_fma_f64 v[163:164], v[92:93], s[12:13], -v[163:164]
	v_fma_f64 v[199:200], v[92:93], s[18:19], v[171:172]
	v_fma_f64 v[171:172], v[92:93], s[18:19], -v[171:172]
	v_add_f64_e32 v[150:151], v[191:192], v[151:152]
	v_add_f64_e32 v[112:113], v[138:139], v[112:113]
	;; [unrolled: 1-line block ×9, first 2 shown]
	v_mul_f64_e32 v[130:131], s[40:41], v[122:123]
	v_mul_f64_e32 v[138:139], s[42:43], v[122:123]
	v_fma_f64 v[191:192], v[90:91], s[12:13], v[175:176]
	v_fma_f64 v[175:176], v[90:91], s[12:13], -v[175:176]
	v_add_f64_e32 v[141:142], v[70:71], v[141:142]
	v_add_f64_e32 v[112:113], v[126:127], v[112:113]
	v_mul_f64_e32 v[126:127], s[22:23], v[110:111]
	v_add_f64_e32 v[82:83], v[124:125], v[82:83]
	v_mul_f64_e32 v[124:125], s[44:45], v[110:111]
	v_add_f64_e32 v[96:97], v[171:172], v[96:97]
	v_add_f64_e64 v[106:107], v[106:107], -v[130:131]
	v_add_f64_e64 v[104:105], v[104:105], -v[138:139]
	v_add_f64_e32 v[141:142], v[46:47], v[141:142]
	v_add_f64_e64 v[80:81], v[80:81], -v[126:127]
	v_add_f64_e64 v[86:87], v[86:87], -v[124:125]
	v_add_f64_e32 v[96:97], v[175:176], v[96:97]
	s_delay_alu instid0(VALU_DEP_4) | instskip(NEXT) | instid1(VALU_DEP_1)
	v_add_f64_e32 v[141:142], v[42:43], v[141:142]
	v_add_f64_e32 v[140:141], v[38:39], v[141:142]
	;; [unrolled: 1-line block ×3, first 2 shown]
	v_mul_f64_e32 v[159:160], s[24:25], v[118:119]
	v_mul_f64_e32 v[118:119], s[22:23], v[118:119]
	v_add_f64_e32 v[144:145], v[169:170], v[145:146]
	v_mul_f64_e32 v[146:147], s[34:35], v[134:135]
	v_mul_f64_e32 v[169:170], s[24:25], v[134:135]
	v_mul_f64_e32 v[134:135], s[46:47], v[134:135]
	v_add_f64_e32 v[140:141], v[34:35], v[140:141]
	v_fma_f64 v[197:198], v[92:93], s[14:15], v[159:160]
	v_fma_f64 v[159:160], v[92:93], s[14:15], -v[159:160]
	v_fma_f64 v[201:202], v[92:93], s[2:3], v[118:119]
	v_fma_f64 v[92:93], v[92:93], s[2:3], -v[118:119]
	v_add_f64_e32 v[118:119], v[132:133], v[157:158]
	v_add_f64_e32 v[132:133], v[153:154], v[142:143]
	;; [unrolled: 1-line block ×5, first 2 shown]
	v_mul_f64_e32 v[157:158], s[30:31], v[122:123]
	v_mul_f64_e32 v[161:162], s[26:27], v[122:123]
	;; [unrolled: 1-line block ×4, first 2 shown]
	v_add_f64_e64 v[114:115], v[114:115], -v[146:147]
	v_fma_f64 v[146:147], v[90:91], s[6:7], v[148:149]
	v_fma_f64 v[148:149], v[90:91], s[6:7], -v[148:149]
	v_add_f64_e64 v[116:117], v[116:117], -v[169:170]
	v_fma_f64 v[169:170], v[90:91], s[16:17], v[155:156]
	v_fma_f64 v[155:156], v[90:91], s[16:17], -v[155:156]
	v_fma_f64 v[185:186], v[90:91], s[18:19], v[165:166]
	v_fma_f64 v[165:166], v[90:91], s[18:19], -v[165:166]
	;; [unrolled: 2-line block ×3, first 2 shown]
	v_fma_f64 v[193:194], v[90:91], s[20:21], -v[134:135]
	v_fma_f64 v[90:91], v[90:91], s[20:21], v[134:135]
	v_add_f64_e32 v[128:129], v[26:27], v[140:141]
	v_mul_f64_e32 v[140:141], s[28:29], v[122:123]
	v_mul_f64_e32 v[122:123], s[52:53], v[122:123]
	v_add_f64_e32 v[30:31], v[201:202], v[30:31]
	v_add_f64_e32 v[84:85], v[92:93], v[84:85]
	;; [unrolled: 1-line block ×11, first 2 shown]
	v_mul_f64_e32 v[150:151], s[28:29], v[110:111]
	v_mul_f64_e32 v[152:153], s[42:43], v[110:111]
	;; [unrolled: 1-line block ×4, first 2 shown]
	v_fma_f64 v[171:172], v[78:79], s[6:7], v[161:162]
	v_fma_f64 v[161:162], v[78:79], s[6:7], -v[161:162]
	v_fma_f64 v[177:178], v[78:79], s[14:15], v[167:168]
	v_fma_f64 v[167:168], v[78:79], s[14:15], -v[167:168]
	;; [unrolled: 2-line block ×3, first 2 shown]
	v_add_f64_e32 v[112:113], v[116:117], v[112:113]
	v_add_f64_e32 v[82:83], v[114:115], v[82:83]
	v_mul_f64_e32 v[116:117], s[40:41], v[88:89]
	v_add_f64_e32 v[120:121], v[22:23], v[128:129]
	v_mul_f64_e32 v[128:129], s[34:35], v[110:111]
	v_mul_f64_e32 v[110:111], s[48:49], v[110:111]
	v_fma_f64 v[130:131], v[78:79], s[18:19], v[140:141]
	v_fma_f64 v[138:139], v[78:79], s[18:19], -v[140:141]
	v_fma_f64 v[140:141], v[78:79], s[20:21], v[157:158]
	v_fma_f64 v[157:158], v[78:79], s[20:21], -v[157:158]
	;; [unrolled: 2-line block ×3, first 2 shown]
	v_add_f64_e32 v[118:119], v[146:147], v[118:119]
	v_add_f64_e32 v[122:123], v[148:149], v[132:133]
	;; [unrolled: 1-line block ×11, first 2 shown]
	v_mul_f64_e32 v[90:91], s[34:35], v[88:89]
	v_mul_f64_e32 v[144:145], s[38:39], v[88:89]
	;; [unrolled: 1-line block ×5, first 2 shown]
	v_fma_f64 v[165:166], v[4:5], s[16:17], v[152:153]
	v_fma_f64 v[152:153], v[4:5], s[16:17], -v[152:153]
	v_fma_f64 v[169:170], v[4:5], s[12:13], -v[159:160]
	v_fma_f64 v[159:160], v[4:5], s[12:13], v[159:160]
	v_fma_f64 v[173:174], v[4:5], s[20:21], v[163:164]
	v_fma_f64 v[163:164], v[4:5], s[20:21], -v[163:164]
	v_add_f64_e32 v[106:107], v[106:107], v[112:113]
	v_add_f64_e32 v[82:83], v[104:105], v[82:83]
	v_add_f64_e64 v[74:75], v[74:75], -v[116:117]
	v_add_f64_e32 v[114:115], v[18:19], v[120:121]
	v_mul_f64_e32 v[120:121], s[26:27], v[88:89]
	v_mul_f64_e32 v[88:89], s[48:49], v[88:89]
	v_fma_f64 v[124:125], v[4:5], s[10:11], v[128:129]
	v_fma_f64 v[126:127], v[4:5], s[10:11], -v[128:129]
	v_fma_f64 v[128:129], v[4:5], s[18:19], v[150:151]
	v_fma_f64 v[150:151], v[4:5], s[18:19], -v[150:151]
	;; [unrolled: 2-line block ×3, first 2 shown]
	v_add_f64_e32 v[110:111], v[177:178], v[118:119]
	v_add_f64_e32 v[118:119], v[167:168], v[122:123]
	;; [unrolled: 1-line block ×12, first 2 shown]
	v_add_f64_e64 v[76:77], v[76:77], -v[90:91]
	v_fma_f64 v[112:113], v[0:1], s[16:17], v[144:145]
	v_fma_f64 v[116:117], v[0:1], s[18:19], v[146:147]
	v_fma_f64 v[136:137], v[0:1], s[2:3], v[148:149]
	v_fma_f64 v[138:139], v[0:1], s[2:3], -v[148:149]
	v_fma_f64 v[140:141], v[0:1], s[20:21], v[154:155]
	v_fma_f64 v[142:143], v[0:1], s[20:21], -v[154:155]
	v_add_f64_e32 v[86:87], v[86:87], v[106:107]
	v_add_f64_e32 v[80:81], v[80:81], v[82:83]
	;; [unrolled: 1-line block ×3, first 2 shown]
	v_fma_f64 v[90:91], v[0:1], s[6:7], v[120:121]
	v_fma_f64 v[108:109], v[0:1], s[6:7], -v[120:121]
	v_fma_f64 v[114:115], v[0:1], s[16:17], -v[144:145]
	;; [unrolled: 1-line block ×3, first 2 shown]
	v_fma_f64 v[144:145], v[0:1], s[14:15], v[88:89]
	v_fma_f64 v[0:1], v[0:1], s[14:15], -v[88:89]
	v_add_f64_e32 v[88:89], v[173:174], v[110:111]
	v_add_f64_e32 v[110:111], v[163:164], v[118:119]
	;; [unrolled: 1-line block ×27, first 2 shown]
	v_mul_u32_u24_e32 v90, 0x88, v98
	s_delay_alu instid0(VALU_DEP_1)
	v_add3_u32 v90, 0, v90, v99
	v_add_f64_e32 v[86:87], v[6:7], v[94:95]
	ds_store_2addr_b64 v90, v[96:97], v[88:89] offset0:8 offset1:9
	ds_store_2addr_b64 v90, v[104:105], v[110:111] offset0:10 offset1:11
	;; [unrolled: 1-line block ×7, first 2 shown]
	ds_store_2addr_b64 v90, v[86:87], v[80:81] offset1:1
	ds_store_b64 v90, v[30:31] offset:128
.LBB0_12:
	s_wait_alu 0xfffe
	s_or_b32 exec_lo, exec_lo, s1
	v_add_f64_e64 v[138:139], v[50:51], -v[6:7]
	v_add_f64_e64 v[136:137], v[54:55], -v[10:11]
	v_add_f64_e32 v[130:131], v[8:9], v[52:53]
	v_add_f64_e64 v[124:125], v[58:59], -v[14:15]
	v_add_f64_e32 v[122:123], v[12:13], v[56:57]
	v_add_f64_e32 v[114:115], v[16:17], v[60:61]
	v_add_f64_e64 v[120:121], v[62:63], -v[18:19]
	v_add_f64_e32 v[106:107], v[20:21], v[64:65]
	v_add_f64_e64 v[112:113], v[66:67], -v[22:23]
	;; [unrolled: 2-line block ×4, first 2 shown]
	v_add_f64_e64 v[30:31], v[42:43], -v[38:39]
	global_wb scope:SCOPE_SE
	s_wait_dscnt 0x0
	s_barrier_signal -1
	s_barrier_wait -1
	global_inv scope:SCOPE_SE
	v_mul_f64_e32 v[132:133], s[24:25], v[138:139]
	v_mul_f64_e32 v[134:135], s[22:23], v[138:139]
	;; [unrolled: 1-line block ×14, first 2 shown]
	v_fma_f64 v[0:1], v[130:131], s[14:15], -v[132:133]
	v_fma_f64 v[4:5], v[130:131], s[2:3], -v[134:135]
	;; [unrolled: 1-line block ×7, first 2 shown]
	v_add_f64_e32 v[0:1], v[32:33], v[0:1]
	v_add_f64_e32 v[4:5], v[32:33], v[4:5]
	s_delay_alu instid0(VALU_DEP_2) | instskip(NEXT) | instid1(VALU_DEP_2)
	v_add_f64_e32 v[0:1], v[6:7], v[0:1]
	v_add_f64_e32 v[4:5], v[10:11], v[4:5]
	v_fma_f64 v[6:7], v[106:107], s[20:21], -v[108:109]
	v_fma_f64 v[10:11], v[106:107], s[16:17], -v[110:111]
	s_delay_alu instid0(VALU_DEP_4) | instskip(NEXT) | instid1(VALU_DEP_4)
	v_add_f64_e32 v[0:1], v[14:15], v[0:1]
	v_add_f64_e32 v[4:5], v[18:19], v[4:5]
	v_fma_f64 v[14:15], v[62:63], s[10:11], -v[66:67]
	v_fma_f64 v[18:19], v[62:63], s[14:15], -v[70:71]
	s_delay_alu instid0(VALU_DEP_4) | instskip(NEXT) | instid1(VALU_DEP_4)
	v_add_f64_e32 v[0:1], v[6:7], v[0:1]
	v_add_f64_e32 v[4:5], v[10:11], v[4:5]
	;; [unrolled: 1-line block ×3, first 2 shown]
	v_fma_f64 v[6:7], v[54:55], s[16:17], -v[34:35]
	s_delay_alu instid0(VALU_DEP_4) | instskip(NEXT) | instid1(VALU_DEP_4)
	v_add_f64_e32 v[0:1], v[14:15], v[0:1]
	v_add_f64_e32 v[42:43], v[18:19], v[4:5]
	;; [unrolled: 1-line block ×3, first 2 shown]
	v_mul_f64_e32 v[14:15], s[40:41], v[30:31]
	v_mul_f64_e32 v[18:19], s[34:35], v[30:31]
	v_fma_f64 v[50:51], v[10:11], s[2:3], -v[22:23]
	v_fma_f64 v[74:75], v[10:11], s[6:7], -v[26:27]
	v_add_f64_e32 v[0:1], v[6:7], v[0:1]
	v_add_f64_e32 v[6:7], v[38:39], v[42:43]
	v_lshlrev_b32_e32 v43, 3, v98
	v_fma_f64 v[38:39], v[4:5], s[12:13], -v[14:15]
	v_fma_f64 v[76:77], v[4:5], s[10:11], -v[18:19]
	s_delay_alu instid0(VALU_DEP_3) | instskip(SKIP_1) | instid1(VALU_DEP_2)
	v_add_nc_u32_e32 v42, 0, v43
	v_add3_u32 v141, 0, v99, v43
	v_add_nc_u32_e32 v140, v42, v99
	s_delay_alu instid0(VALU_DEP_1) | instskip(SKIP_4) | instid1(VALU_DEP_2)
	v_add_nc_u32_e32 v142, 0x800, v140
	v_add_nc_u32_e32 v143, 0x1000, v140
	;; [unrolled: 1-line block ×3, first 2 shown]
	v_add_f64_e32 v[0:1], v[50:51], v[0:1]
	v_add_f64_e32 v[6:7], v[74:75], v[6:7]
	;; [unrolled: 1-line block ×3, first 2 shown]
	s_delay_alu instid0(VALU_DEP_2)
	v_add_f64_e32 v[6:7], v[76:77], v[6:7]
	v_add_nc_u32_e32 v39, 0x400, v140
	v_add_nc_u32_e32 v38, 0x1800, v140
	ds_load_b64 v[0:1], v141
	ds_load_2addr_b64 v[94:97], v140 offset0:85 offset1:170
	ds_load_2addr_b64 v[90:93], v39 offset0:127 offset1:212
	;; [unrolled: 1-line block ×6, first 2 shown]
	global_wb scope:SCOPE_SE
	s_wait_dscnt 0x0
	s_barrier_signal -1
	s_barrier_wait -1
	global_inv scope:SCOPE_SE
	s_and_saveexec_b32 s33, s0
	s_cbranch_execz .LBB0_14
; %bb.13:
	v_add_f64_e32 v[52:53], v[52:53], v[32:33]
	v_mul_f64_e32 v[145:146], s[20:21], v[114:115]
	v_mul_f64_e32 v[147:148], s[20:21], v[106:107]
	s_mov_b32 s36, 0x5d8e7cdc
	s_mov_b32 s20, 0x923c349f
	;; [unrolled: 1-line block ×10, first 2 shown]
	s_wait_alu 0xfffe
	v_mul_f64_e32 v[149:150], s[36:37], v[138:139]
	v_mul_f64_e32 v[151:152], s[20:21], v[138:139]
	;; [unrolled: 1-line block ×4, first 2 shown]
	s_mov_b32 s48, 0x2a9d6da3
	v_mul_f64_e32 v[157:158], s[42:43], v[138:139]
	s_mov_b32 s49, 0xbfe58eea
	s_mov_b32 s0, 0x370991
	s_wait_alu 0xfffe
	v_mul_f64_e32 v[138:139], s[48:49], v[138:139]
	s_mov_b32 s22, 0xc61f0d01
	s_mov_b32 s1, 0x3fedd6d0
	;; [unrolled: 1-line block ×16, first 2 shown]
	v_add_f64_e32 v[52:53], v[56:57], v[52:53]
	v_mul_f64_e32 v[56:57], s[14:15], v[130:131]
	s_mov_b32 s52, s20
	s_mov_b32 s46, s36
	s_mov_b32 s27, 0xbfef7484
	v_mul_f64_e32 v[163:164], s[56:57], v[136:137]
	s_wait_alu 0xfffe
	v_mul_f64_e32 v[159:160], s[38:39], v[136:137]
	v_mul_f64_e32 v[161:162], s[44:45], v[136:137]
	;; [unrolled: 1-line block ×3, first 2 shown]
	s_mov_b32 s28, 0x3259b75e
	s_mov_b32 s40, 0x2b2883cd
	;; [unrolled: 1-line block ×6, first 2 shown]
	v_fma_f64 v[167:168], v[130:131], s[24:25], v[153:154]
	v_fma_f64 v[169:170], v[130:131], s[34:35], v[155:156]
	v_fma_f64 v[153:154], v[130:131], s[24:25], -v[153:154]
	v_fma_f64 v[171:172], v[130:131], s[26:27], v[157:158]
	v_fma_f64 v[157:158], v[130:131], s[26:27], -v[157:158]
	v_fma_f64 v[155:156], v[130:131], s[34:35], -v[155:156]
	s_mov_b32 s29, 0x3fb79ee6
	s_mov_b32 s41, 0x3fdc86fa
	v_mul_f64_e32 v[175:176], s[38:39], v[124:125]
	v_mul_f64_e32 v[177:178], s[50:51], v[124:125]
	;; [unrolled: 1-line block ×3, first 2 shown]
	s_mov_b32 s61, 0x3fe9895b
	s_mov_b32 s60, s30
	v_mul_f64_e32 v[191:192], s[58:59], v[120:121]
	v_mul_f64_e32 v[189:190], s[50:51], v[120:121]
	;; [unrolled: 1-line block ×3, first 2 shown]
	v_add_f64_e32 v[108:109], v[147:148], v[108:109]
	v_add_f64_e32 v[52:53], v[60:61], v[52:53]
	v_mul_f64_e32 v[60:61], s[2:3], v[130:131]
	v_add_f64_e32 v[56:57], v[56:57], v[132:133]
	v_fma_f64 v[132:133], v[130:131], s[0:1], v[149:150]
	v_fma_f64 v[183:184], v[122:123], s[34:35], v[163:164]
	v_fma_f64 v[163:164], v[122:123], s[34:35], -v[163:164]
	s_wait_alu 0xfffe
	v_fma_f64 v[181:182], v[122:123], s[40:41], v[161:162]
	v_fma_f64 v[161:162], v[122:123], s[40:41], -v[161:162]
	v_fma_f64 v[185:186], v[122:123], s[22:23], v[165:166]
	v_fma_f64 v[165:166], v[122:123], s[22:23], -v[165:166]
	v_add_f64_e32 v[153:154], v[32:33], v[153:154]
	v_add_f64_e32 v[157:158], v[32:33], v[157:158]
	;; [unrolled: 1-line block ×3, first 2 shown]
	v_fma_f64 v[195:196], v[114:115], s[28:29], v[175:176]
	v_fma_f64 v[175:176], v[114:115], s[28:29], -v[175:176]
	v_fma_f64 v[199:200], v[114:115], s[40:41], v[179:180]
	v_fma_f64 v[197:198], v[114:115], s[34:35], v[177:178]
	v_fma_f64 v[177:178], v[114:115], s[34:35], -v[177:178]
	v_fma_f64 v[179:180], v[114:115], s[40:41], -v[179:180]
	v_add_f64_e32 v[52:53], v[64:65], v[52:53]
	v_mul_f64_e32 v[64:65], s[6:7], v[122:123]
	v_add_f64_e32 v[60:61], v[60:61], v[134:135]
	v_fma_f64 v[134:135], v[130:131], s[22:23], v[151:152]
	v_fma_f64 v[151:152], v[130:131], s[22:23], -v[151:152]
	v_add_f64_e32 v[56:57], v[32:33], v[56:57]
	v_add_f64_e32 v[132:133], v[32:33], v[132:133]
	;; [unrolled: 1-line block ×3, first 2 shown]
	v_mul_f64_e32 v[68:69], s[18:19], v[122:123]
	v_add_f64_e32 v[64:65], v[64:65], v[126:127]
	v_add_f64_e32 v[60:61], v[32:33], v[60:61]
	;; [unrolled: 1-line block ×5, first 2 shown]
	v_mul_f64_e32 v[72:73], s[18:19], v[114:115]
	s_mov_b32 s18, 0x75d4884
	s_mov_b32 s19, 0x3fe7a5f6
	v_add_f64_e32 v[68:69], v[68:69], v[128:129]
	s_wait_alu 0xfffe
	v_fma_f64 v[173:174], v[130:131], s[18:19], -v[138:139]
	v_fma_f64 v[128:129], v[122:123], s[28:29], v[159:160]
	v_fma_f64 v[159:160], v[122:123], s[28:29], -v[159:160]
	v_add_f64_e32 v[56:57], v[64:65], v[56:57]
	v_add_f64_e32 v[151:152], v[163:164], v[151:152]
	;; [unrolled: 1-line block ×3, first 2 shown]
	v_mul_f64_e32 v[52:53], s[48:49], v[136:137]
	v_mul_f64_e32 v[136:137], s[46:47], v[136:137]
	v_add_f64_e32 v[72:73], v[72:73], v[116:117]
	v_add_f64_e32 v[116:117], v[145:146], v[118:119]
	;; [unrolled: 1-line block ×5, first 2 shown]
	v_fma_f64 v[48:49], v[130:131], s[18:19], v[138:139]
	v_fma_f64 v[130:131], v[130:131], s[0:1], -v[149:150]
	v_mul_f64_e32 v[138:139], s[30:31], v[124:125]
	v_mul_f64_e32 v[149:150], s[36:37], v[124:125]
	;; [unrolled: 1-line block ×3, first 2 shown]
	v_fma_f64 v[126:127], v[122:123], s[18:19], v[52:53]
	v_fma_f64 v[52:53], v[122:123], s[18:19], -v[52:53]
	v_fma_f64 v[187:188], v[122:123], s[0:1], v[136:137]
	v_fma_f64 v[122:123], v[122:123], s[0:1], -v[136:137]
	v_add_f64_e32 v[136:137], v[32:33], v[167:168]
	v_add_f64_e32 v[167:168], v[32:33], v[169:170]
	;; [unrolled: 1-line block ×4, first 2 shown]
	v_mul_f64_e32 v[173:174], s[42:43], v[120:121]
	v_add_f64_e32 v[56:57], v[72:73], v[56:57]
	v_add_f64_e32 v[60:61], v[116:117], v[60:61]
	;; [unrolled: 1-line block ×5, first 2 shown]
	v_mul_f64_e32 v[48:49], s[16:17], v[106:107]
	v_mul_f64_e32 v[130:131], s[38:39], v[120:121]
	v_fma_f64 v[201:202], v[114:115], s[18:19], v[124:125]
	v_add_f64_e32 v[64:65], v[126:127], v[132:133]
	v_mul_f64_e32 v[120:121], s[54:55], v[120:121]
	v_fma_f64 v[118:119], v[114:115], s[24:25], v[138:139]
	v_fma_f64 v[138:139], v[114:115], s[24:25], -v[138:139]
	v_fma_f64 v[145:146], v[114:115], s[0:1], v[149:150]
	v_fma_f64 v[149:150], v[114:115], s[0:1], -v[149:150]
	v_fma_f64 v[114:115], v[114:115], s[18:19], -v[124:125]
	v_add_f64_e32 v[124:125], v[185:186], v[136:137]
	v_add_f64_e32 v[132:133], v[181:182], v[167:168]
	v_add_f64_e32 v[134:135], v[187:188], v[169:170]
	v_add_f64_e32 v[122:123], v[122:123], v[157:158]
	v_add_f64_e32 v[126:127], v[165:166], v[153:154]
	v_add_f64_e32 v[136:137], v[161:162], v[155:156]
	v_add_f64_e32 v[153:154], v[159:160], v[171:172]
	s_mov_b32 s39, 0x3fefdd0d
	v_mul_f64_e32 v[155:156], s[42:43], v[112:113]
	v_fma_f64 v[169:170], v[106:107], s[40:41], v[191:192]
	v_mul_f64_e32 v[157:158], s[36:37], v[112:113]
	v_mul_f64_e32 v[159:160], s[30:31], v[112:113]
	;; [unrolled: 1-line block ×3, first 2 shown]
	v_fma_f64 v[147:148], v[106:107], s[26:27], v[173:174]
	v_fma_f64 v[163:164], v[106:107], s[26:27], -v[173:174]
	v_fma_f64 v[165:166], v[106:107], s[34:35], v[189:190]
	v_fma_f64 v[167:168], v[106:107], s[34:35], -v[189:190]
	v_fma_f64 v[171:172], v[106:107], s[40:41], -v[191:192]
	v_fma_f64 v[173:174], v[106:107], s[24:25], v[193:194]
	v_fma_f64 v[181:182], v[106:107], s[24:25], -v[193:194]
	v_add_f64_e32 v[56:57], v[108:109], v[56:57]
	v_add_f64_e32 v[36:37], v[36:37], v[40:41]
	;; [unrolled: 1-line block ×4, first 2 shown]
	v_mul_f64_e32 v[43:44], s[10:11], v[62:63]
	v_mul_f64_e32 v[52:53], s[14:15], v[62:63]
	;; [unrolled: 1-line block ×3, first 2 shown]
	v_add_f64_e32 v[48:49], v[48:49], v[110:111]
	v_fma_f64 v[110:111], v[106:107], s[28:29], v[130:131]
	v_add_f64_e32 v[64:65], v[199:200], v[64:65]
	v_add_f64_e32 v[68:69], v[201:202], v[68:69]
	s_wait_alu 0xfffe
	v_mul_f64_e32 v[112:113], s[38:39], v[112:113]
	v_fma_f64 v[130:131], v[106:107], s[28:29], -v[130:131]
	v_fma_f64 v[183:184], v[106:107], s[18:19], v[120:121]
	v_fma_f64 v[106:107], v[106:107], s[18:19], -v[120:121]
	v_add_f64_e32 v[72:73], v[145:146], v[124:125]
	v_add_f64_e32 v[120:121], v[195:196], v[132:133]
	;; [unrolled: 1-line block ×8, first 2 shown]
	v_mul_f64_e32 v[134:135], s[30:31], v[104:105]
	v_mul_f64_e32 v[136:137], s[48:49], v[104:105]
	;; [unrolled: 1-line block ×6, first 2 shown]
	v_fma_f64 v[153:154], v[62:63], s[0:1], v[157:158]
	v_fma_f64 v[151:152], v[62:63], s[26:27], -v[155:156]
	v_fma_f64 v[175:176], v[62:63], s[34:35], v[161:162]
	v_fma_f64 v[161:162], v[62:63], s[34:35], -v[161:162]
	v_add_f64_e32 v[28:29], v[28:29], v[36:37]
	v_add_f64_e32 v[36:37], v[118:119], v[40:41]
	;; [unrolled: 1-line block ×3, first 2 shown]
	v_mul_f64_e32 v[40:41], s[16:17], v[54:55]
	v_mul_f64_e32 v[118:119], s[12:13], v[54:55]
	v_add_f64_e32 v[43:44], v[43:44], v[66:67]
	v_add_f64_e32 v[52:53], v[52:53], v[70:71]
	v_fma_f64 v[66:67], v[62:63], s[22:23], v[128:129]
	v_fma_f64 v[70:71], v[62:63], s[22:23], -v[128:129]
	v_fma_f64 v[128:129], v[62:63], s[26:27], v[155:156]
	v_add_f64_e32 v[48:49], v[48:49], v[60:61]
	v_add_f64_e32 v[60:61], v[110:111], v[64:65]
	;; [unrolled: 1-line block ×3, first 2 shown]
	v_fma_f64 v[177:178], v[62:63], s[28:29], v[112:113]
	v_add_f64_e32 v[68:69], v[165:166], v[72:73]
	v_add_f64_e32 v[108:109], v[173:174], v[120:121]
	v_fma_f64 v[155:156], v[62:63], s[0:1], -v[157:158]
	v_fma_f64 v[157:158], v[62:63], s[24:25], v[159:160]
	v_fma_f64 v[159:160], v[62:63], s[24:25], -v[159:160]
	v_add_f64_e32 v[110:111], v[183:184], v[124:125]
	v_add_f64_e32 v[106:107], v[106:107], v[122:123]
	v_fma_f64 v[62:63], v[62:63], s[28:29], -v[112:113]
	v_add_f64_e32 v[72:73], v[167:168], v[116:117]
	v_add_f64_e32 v[112:113], v[181:182], v[126:127]
	;; [unrolled: 1-line block ×4, first 2 shown]
	v_mul_f64_e32 v[120:121], s[6:7], v[10:11]
	v_mul_f64_e32 v[126:127], s[36:37], v[58:59]
	v_fma_f64 v[167:168], v[54:55], s[28:29], v[104:105]
	v_mul_f64_e32 v[122:123], s[50:51], v[58:59]
	v_mul_f64_e32 v[124:125], s[44:45], v[58:59]
	;; [unrolled: 1-line block ×3, first 2 shown]
	v_fma_f64 v[163:164], v[54:55], s[40:41], v[145:146]
	v_fma_f64 v[145:146], v[54:55], s[40:41], -v[145:146]
	v_fma_f64 v[165:166], v[54:55], s[22:23], v[149:150]
	v_fma_f64 v[149:150], v[54:55], s[22:23], -v[149:150]
	v_add_f64_e32 v[24:25], v[24:25], v[28:29]
	v_add_f64_e32 v[28:29], v[147:148], v[36:37]
	;; [unrolled: 1-line block ×3, first 2 shown]
	v_mul_f64_e32 v[36:37], s[2:3], v[10:11]
	v_add_f64_e32 v[34:35], v[40:41], v[34:35]
	v_add_f64_e32 v[40:41], v[118:119], v[46:47]
	v_fma_f64 v[45:46], v[54:55], s[24:25], v[134:135]
	v_add_f64_e32 v[43:44], v[43:44], v[56:57]
	v_mul_f64_e32 v[130:131], s[42:43], v[58:59]
	v_mul_f64_e32 v[58:59], s[54:55], v[58:59]
	v_add_f64_e32 v[47:48], v[52:53], v[48:49]
	v_add_f64_e32 v[52:53], v[66:67], v[60:61]
	;; [unrolled: 1-line block ×3, first 2 shown]
	v_fma_f64 v[118:119], v[54:55], s[24:25], -v[134:135]
	v_fma_f64 v[134:135], v[54:55], s[18:19], v[136:137]
	v_fma_f64 v[147:148], v[54:55], s[26:27], v[138:139]
	v_add_f64_e32 v[60:61], v[177:178], v[68:69]
	v_add_f64_e32 v[64:65], v[153:154], v[108:109]
	v_fma_f64 v[136:137], v[54:55], s[18:19], -v[136:137]
	v_add_f64_e32 v[66:67], v[157:158], v[110:111]
	v_add_f64_e32 v[68:69], v[159:160], v[106:107]
	v_fma_f64 v[138:139], v[54:55], s[26:27], -v[138:139]
	v_add_f64_e32 v[62:63], v[62:63], v[72:73]
	v_add_f64_e32 v[72:73], v[155:156], v[112:113]
	v_fma_f64 v[54:55], v[54:55], s[28:29], -v[104:105]
	v_add_f64_e32 v[104:105], v[151:152], v[114:115]
	v_add_f64_e32 v[106:107], v[161:162], v[116:117]
	v_mul_f64_e32 v[110:111], s[30:31], v[30:31]
	v_add_f64_e32 v[26:27], v[120:121], v[26:27]
	v_fma_f64 v[128:129], v[10:11], s[0:1], v[126:127]
	v_mul_f64_e32 v[108:109], s[42:43], v[30:31]
	v_mul_f64_e32 v[112:113], s[44:45], v[30:31]
	;; [unrolled: 1-line block ×5, first 2 shown]
	v_fma_f64 v[120:121], v[10:11], s[34:35], -v[122:123]
	v_fma_f64 v[126:127], v[10:11], s[0:1], -v[126:127]
	v_fma_f64 v[153:154], v[10:11], s[22:23], v[132:133]
	v_add_f64_e32 v[20:21], v[20:21], v[24:25]
	v_add_f64_e32 v[24:25], v[175:176], v[28:29]
	;; [unrolled: 1-line block ×3, first 2 shown]
	v_mul_f64_e32 v[70:71], s[10:11], v[4:5]
	v_add_f64_e32 v[22:23], v[36:37], v[22:23]
	v_mul_f64_e32 v[32:33], s[12:13], v[4:5]
	v_fma_f64 v[36:37], v[10:11], s[34:35], v[122:123]
	v_add_f64_e32 v[34:35], v[34:35], v[43:44]
	v_fma_f64 v[151:152], v[10:11], s[26:27], v[130:131]
	v_fma_f64 v[155:156], v[10:11], s[18:19], v[58:59]
	v_add_f64_e32 v[40:41], v[40:41], v[47:48]
	v_add_f64_e32 v[43:44], v[45:46], v[52:53]
	;; [unrolled: 1-line block ×3, first 2 shown]
	v_fma_f64 v[122:123], v[10:11], s[40:41], v[124:125]
	v_fma_f64 v[124:125], v[10:11], s[40:41], -v[124:125]
	v_fma_f64 v[130:131], v[10:11], s[26:27], -v[130:131]
	v_add_f64_e32 v[47:48], v[134:135], v[60:61]
	v_add_f64_e32 v[56:57], v[147:148], v[64:65]
	v_fma_f64 v[132:133], v[10:11], s[22:23], -v[132:133]
	v_fma_f64 v[10:11], v[10:11], s[18:19], -v[58:59]
	v_add_f64_e32 v[58:59], v[163:164], v[66:67]
	v_add_f64_e32 v[60:61], v[145:146], v[68:69]
	;; [unrolled: 1-line block ×6, first 2 shown]
	v_fma_f64 v[66:67], v[4:5], s[24:25], v[110:111]
	v_fma_f64 v[68:69], v[4:5], s[24:25], -v[110:111]
	v_fma_f64 v[72:73], v[4:5], s[40:41], -v[112:113]
	v_fma_f64 v[104:105], v[4:5], s[22:23], v[114:115]
	v_fma_f64 v[106:107], v[4:5], s[22:23], -v[114:115]
	v_fma_f64 v[110:111], v[4:5], s[0:1], -v[116:117]
	v_add_f64_e32 v[16:17], v[16:17], v[20:21]
	v_add_f64_e32 v[20:21], v[165:166], v[24:25]
	;; [unrolled: 1-line block ×4, first 2 shown]
	v_fma_f64 v[28:29], v[4:5], s[26:27], v[108:109]
	v_add_f64_e32 v[14:15], v[32:33], v[14:15]
	v_fma_f64 v[32:33], v[4:5], s[26:27], -v[108:109]
	v_add_f64_e32 v[22:23], v[22:23], v[34:35]
	v_fma_f64 v[70:71], v[4:5], s[40:41], v[112:113]
	v_fma_f64 v[108:109], v[4:5], s[0:1], v[116:117]
	v_add_f64_e32 v[26:27], v[26:27], v[40:41]
	v_fma_f64 v[112:113], v[4:5], s[28:29], v[30:31]
	v_add_f64_e32 v[34:35], v[128:129], v[45:46]
	v_fma_f64 v[4:5], v[4:5], s[28:29], -v[30:31]
	v_add_f64_e32 v[30:31], v[36:37], v[43:44]
	v_add_f64_e32 v[36:37], v[151:152], v[47:48]
	;; [unrolled: 1-line block ×27, first 2 shown]
	v_lshlrev_b32_e32 v20, 7, v98
	s_delay_alu instid0(VALU_DEP_1)
	v_add3_u32 v20, v42, v20, v99
	ds_store_2addr_b64 v20, v[18:19], v[24:25] offset0:4 offset1:5
	ds_store_2addr_b64 v20, v[26:27], v[30:31] offset0:6 offset1:7
	;; [unrolled: 1-line block ×6, first 2 shown]
	ds_store_2addr_b64 v20, v[8:9], v[22:23] offset1:1
	ds_store_2addr_b64 v20, v[12:13], v[14:15] offset0:2 offset1:3
	ds_store_b64 v20, v[16:17] offset:128
.LBB0_14:
	s_or_b32 exec_lo, exec_lo, s33
	v_and_b32_e32 v4, 0xff, v98
	global_wb scope:SCOPE_SE
	s_wait_dscnt 0x0
	s_barrier_signal -1
	s_barrier_wait -1
	global_inv scope:SCOPE_SE
	v_mul_lo_u16 v4, 0xf1, v4
	s_mov_b32 s36, 0x4267c47c
	s_mov_b32 s14, 0x42a4c3d2
	;; [unrolled: 1-line block ×4, first 2 shown]
	v_lshrrev_b16 v12, 12, v4
	s_mov_b32 s15, 0xbfea55e2
	s_mov_b32 s27, 0xbfefc445
	;; [unrolled: 1-line block ×4, first 2 shown]
	v_mul_lo_u16 v4, v12, 17
	s_mov_b32 s21, 0xbfedeba7
	s_mov_b32 s23, 0xbfe5384d
	;; [unrolled: 1-line block ×4, first 2 shown]
	v_sub_nc_u16 v4, v98, v4
	s_mov_b32 s2, 0xe00740e9
	s_mov_b32 s6, 0x1ea71119
	;; [unrolled: 1-line block ×4, first 2 shown]
	v_and_b32_e32 v13, 0xff, v4
	s_mov_b32 s7, 0x3fe22d96
	s_mov_b32 s11, 0x3fbedb7d
	;; [unrolled: 1-line block ×4, first 2 shown]
	v_mul_u32_u24_e32 v4, 12, v13
	s_mov_b32 s35, 0x3fe5384d
	s_mov_b32 s29, 0x3fefc445
	;; [unrolled: 1-line block ×3, first 2 shown]
	s_wait_alu 0xfffe
	s_mov_b32 s34, s22
	v_lshlrev_b32_e32 v4, 4, v4
	s_mov_b32 s28, s26
	s_mov_b32 s30, s36
	;; [unrolled: 1-line block ×4, first 2 shown]
	s_clause 0xb
	global_load_b128 v[8:11], v4, s[4:5]
	global_load_b128 v[14:17], v4, s[4:5] offset:16
	global_load_b128 v[18:21], v4, s[4:5] offset:32
	;; [unrolled: 1-line block ×11, first 2 shown]
	ds_load_2addr_b64 v[34:37], v140 offset0:85 offset1:170
	ds_load_2addr_b64 v[58:61], v39 offset0:127 offset1:212
	s_mov_b32 s18, 0x93053d00
	s_mov_b32 s19, 0xbfef11f4
	;; [unrolled: 1-line block ×8, first 2 shown]
	v_and_b32_e32 v12, 0xffff, v12
	v_lshlrev_b32_e32 v13, 3, v13
	v_cmp_gt_u32_e64 s0, 51, v98
	s_delay_alu instid0(VALU_DEP_3)
	v_mad_u32_u24 v12, 0x6e8, v12, 0
	s_wait_loadcnt_dscnt 0xb01
	v_mul_f64_e32 v[4:5], v[34:35], v[10:11]
	s_wait_loadcnt 0xa
	v_mul_f64_e32 v[30:31], v[36:37], v[16:17]
	v_mul_f64_e32 v[10:11], v[94:95], v[10:11]
	s_wait_loadcnt 0x8
	v_mul_f64_e32 v[44:45], v[88:89], v[24:25]
	s_wait_loadcnt_dscnt 0x700
	v_mul_f64_e32 v[48:49], v[60:61], v[28:29]
	v_mul_f64_e32 v[16:17], v[96:97], v[16:17]
	v_fma_f64 v[46:47], v[94:95], v[8:9], -v[4:5]
	v_mul_f64_e32 v[4:5], v[58:59], v[20:21]
	v_fma_f64 v[40:41], v[96:97], v[14:15], -v[30:31]
	ds_load_2addr_b64 v[94:97], v142 offset0:169 offset1:254
	v_fma_f64 v[56:57], v[34:35], v[8:9], v[10:11]
	v_fma_f64 v[34:35], v[92:93], v[26:27], -v[48:49]
	v_mul_f64_e32 v[20:21], v[90:91], v[20:21]
	ds_load_2addr_b64 v[8:11], v144 offset0:125 offset1:210
	s_wait_loadcnt_dscnt 0x501
	v_mul_f64_e32 v[64:65], v[94:95], v[68:69]
	v_mul_f64_e32 v[68:69], v[82:83], v[68:69]
	v_add_f64_e32 v[30:31], v[0:1], v[46:47]
	v_fma_f64 v[42:43], v[90:91], v[18:19], -v[4:5]
	s_wait_loadcnt 0x4
	v_mul_f64_e32 v[90:91], v[76:77], v[72:73]
	s_wait_dscnt 0x0
	v_mul_f64_e32 v[72:73], v[10:11], v[72:73]
	s_delay_alu instid0(VALU_DEP_4)
	v_add_f64_e32 v[4:5], v[30:31], v[40:41]
	ds_load_2addr_b64 v[30:33], v38 offset0:167 offset1:252
	v_mul_f64_e32 v[38:39], v[86:87], v[54:55]
	s_wait_dscnt 0x0
	v_mul_f64_e32 v[24:25], v[32:33], v[24:25]
	v_fma_f64 v[32:33], v[32:33], v[22:23], v[44:45]
	v_mul_f64_e32 v[120:121], v[30:31], v[54:55]
	v_fma_f64 v[44:45], v[36:37], v[14:15], v[16:17]
	ds_load_2addr_b64 v[14:17], v143 offset0:83 offset1:168
	v_fma_f64 v[54:55], v[58:59], v[18:19], v[20:21]
	v_add_f64_e32 v[48:49], v[4:5], v[42:43]
	v_fma_f64 v[4:5], v[30:31], v[52:53], v[38:39]
	v_fma_f64 v[30:31], v[82:83], v[66:67], -v[64:65]
	v_fma_f64 v[82:83], v[76:77], v[70:71], -v[72:73]
	s_wait_loadcnt_dscnt 0x100
	v_mul_f64_e32 v[18:19], v[14:15], v[114:115]
	s_wait_loadcnt 0x0
	v_mul_f64_e32 v[122:123], v[16:17], v[118:119]
	v_mul_f64_e32 v[118:119], v[80:81], v[118:119]
	v_fma_f64 v[62:63], v[88:89], v[22:23], -v[24:25]
	v_add_f64_e64 v[22:23], v[56:57], -v[32:33]
	v_mul_f64_e32 v[24:25], v[96:97], v[106:107]
	v_mul_f64_e32 v[88:89], v[74:75], v[110:111]
	v_fma_f64 v[64:65], v[86:87], v[52:53], -v[120:121]
	v_mul_f64_e32 v[110:111], v[8:9], v[110:111]
	v_add_f64_e32 v[36:37], v[48:49], v[34:35]
	v_mul_f64_e32 v[48:49], v[92:93], v[28:29]
	v_fma_f64 v[28:29], v[10:11], v[70:71], v[90:91]
	v_add_f64_e64 v[10:11], v[44:45], -v[4:5]
	v_fma_f64 v[70:71], v[94:95], v[66:67], v[68:69]
	v_fma_f64 v[76:77], v[80:81], v[116:117], -v[122:123]
	v_fma_f64 v[72:73], v[16:17], v[116:117], v[118:119]
	v_add_f64_e32 v[16:17], v[42:43], v[82:83]
	v_add_f64_e32 v[20:21], v[46:47], v[62:63]
	v_mul_f64_e32 v[52:53], s[36:37], v[22:23]
	v_mul_f64_e32 v[86:87], s[14:15], v[22:23]
	;; [unrolled: 1-line block ×6, first 2 shown]
	v_fma_f64 v[38:39], v[84:85], v[104:105], -v[24:25]
	v_mul_f64_e32 v[84:85], v[84:85], v[106:107]
	v_fma_f64 v[74:75], v[74:75], v[108:109], -v[110:111]
	v_add_f64_e32 v[24:25], v[36:37], v[30:31]
	v_fma_f64 v[58:59], v[60:61], v[26:27], v[48:49]
	v_fma_f64 v[36:37], v[8:9], v[108:109], v[88:89]
	v_add_f64_e64 v[8:9], v[54:55], -v[28:29]
	v_add_f64_e32 v[26:27], v[40:41], v[64:65]
	v_mul_f64_e32 v[48:49], s[14:15], v[10:11]
	v_mul_f64_e32 v[88:89], s[20:21], v[10:11]
	;; [unrolled: 1-line block ×3, first 2 shown]
	s_wait_alu 0xfffe
	v_mul_f64_e32 v[126:127], s[34:35], v[10:11]
	v_mul_f64_e32 v[128:129], s[28:29], v[10:11]
	;; [unrolled: 1-line block ×3, first 2 shown]
	v_fma_f64 v[60:61], v[78:79], v[112:113], -v[18:19]
	v_fma_f64 v[18:19], v[20:21], s[2:3], -v[52:53]
	;; [unrolled: 1-line block ×3, first 2 shown]
	v_fma_f64 v[86:87], v[20:21], s[6:7], v[86:87]
	v_fma_f64 v[130:131], v[20:21], s[10:11], -v[90:91]
	v_fma_f64 v[132:133], v[20:21], s[12:13], -v[92:93]
	v_fma_f64 v[92:93], v[20:21], s[12:13], v[92:93]
	v_fma_f64 v[134:135], v[20:21], s[16:17], -v[120:121]
	v_fma_f64 v[136:137], v[20:21], s[18:19], -v[22:23]
	v_fma_f64 v[22:23], v[20:21], s[18:19], v[22:23]
	v_fma_f64 v[120:121], v[20:21], s[16:17], v[120:121]
	;; [unrolled: 1-line block ×4, first 2 shown]
	v_mul_f64_e32 v[52:53], v[78:79], v[114:115]
	v_fma_f64 v[66:67], v[96:97], v[104:105], v[84:85]
	v_add_f64_e32 v[24:25], v[24:25], v[38:39]
	v_add_f64_e64 v[78:79], v[58:59], -v[36:37]
	v_mul_f64_e32 v[80:81], s[26:27], v[8:9]
	v_mul_f64_e32 v[94:95], s[24:25], v[8:9]
	;; [unrolled: 1-line block ×6, first 2 shown]
	v_fma_f64 v[116:117], v[26:27], s[6:7], -v[48:49]
	v_fma_f64 v[48:49], v[26:27], s[6:7], v[48:49]
	v_fma_f64 v[118:119], v[26:27], s[12:13], -v[88:89]
	v_fma_f64 v[88:89], v[26:27], s[12:13], v[88:89]
	;; [unrolled: 2-line block ×6, first 2 shown]
	v_add_f64_e32 v[18:19], v[0:1], v[18:19]
	v_add_f64_e32 v[26:27], v[0:1], v[106:107]
	;; [unrolled: 1-line block ×12, first 2 shown]
	v_fma_f64 v[68:69], v[14:15], v[112:113], v[52:53]
	v_add_f64_e32 v[14:15], v[34:35], v[74:75]
	v_add_f64_e32 v[20:21], v[24:25], v[60:61]
	v_add_f64_e64 v[24:25], v[70:71], -v[72:73]
	v_mul_f64_e32 v[52:53], s[20:21], v[78:79]
	v_mul_f64_e32 v[84:85], s[34:35], v[78:79]
	;; [unrolled: 1-line block ×6, first 2 shown]
	v_fma_f64 v[136:137], v[16:17], s[10:11], -v[80:81]
	v_fma_f64 v[80:81], v[16:17], s[10:11], v[80:81]
	v_fma_f64 v[149:150], v[16:17], s[18:19], -v[94:95]
	v_fma_f64 v[94:95], v[16:17], s[18:19], v[94:95]
	;; [unrolled: 2-line block ×6, first 2 shown]
	v_add_f64_e32 v[16:17], v[116:117], v[18:19]
	v_add_f64_e32 v[18:19], v[118:119], v[26:27]
	;; [unrolled: 1-line block ×13, first 2 shown]
	v_add_f64_e64 v[118:119], v[66:67], -v[68:69]
	v_add_f64_e32 v[20:21], v[20:21], v[76:77]
	v_mul_f64_e32 v[120:121], s[22:23], v[24:25]
	v_mul_f64_e32 v[122:123], s[28:29], v[24:25]
	;; [unrolled: 1-line block ×6, first 2 shown]
	v_fma_f64 v[130:131], v[14:15], s[12:13], -v[52:53]
	v_fma_f64 v[52:53], v[14:15], s[12:13], v[52:53]
	v_fma_f64 v[132:133], v[14:15], s[16:17], -v[84:85]
	v_fma_f64 v[84:85], v[14:15], s[16:17], v[84:85]
	;; [unrolled: 2-line block ×6, first 2 shown]
	v_add_f64_e32 v[16:17], v[136:137], v[16:17]
	v_add_f64_e32 v[18:19], v[149:150], v[18:19]
	;; [unrolled: 1-line block ×13, first 2 shown]
	v_mul_f64_e32 v[90:91], s[24:25], v[118:119]
	v_mul_f64_e32 v[106:107], s[30:31], v[118:119]
	;; [unrolled: 1-line block ×3, first 2 shown]
	v_add_f64_e32 v[20:21], v[20:21], v[74:75]
	v_mul_f64_e32 v[110:111], s[40:41], v[118:119]
	v_mul_f64_e32 v[114:115], s[20:21], v[118:119]
	;; [unrolled: 1-line block ×3, first 2 shown]
	v_fma_f64 v[118:119], v[48:49], s[16:17], -v[120:121]
	v_fma_f64 v[120:121], v[48:49], s[16:17], v[120:121]
	v_fma_f64 v[136:137], v[48:49], s[10:11], -v[122:123]
	v_fma_f64 v[122:123], v[48:49], s[10:11], v[122:123]
	v_fma_f64 v[149:150], v[48:49], s[6:7], -v[124:125]
	v_fma_f64 v[124:125], v[48:49], s[6:7], v[124:125]
	v_fma_f64 v[151:152], v[48:49], s[18:19], -v[126:127]
	v_fma_f64 v[126:127], v[48:49], s[18:19], v[126:127]
	v_fma_f64 v[153:154], v[48:49], s[2:3], -v[128:129]
	v_fma_f64 v[128:129], v[48:49], s[2:3], v[128:129]
	v_fma_f64 v[155:156], v[48:49], s[12:13], -v[24:25]
	v_fma_f64 v[24:25], v[48:49], s[12:13], v[24:25]
	v_add_f64_e32 v[16:17], v[130:131], v[16:17]
	v_add_f64_e32 v[18:19], v[132:133], v[18:19]
	v_add_f64_e32 v[26:27], v[84:85], v[26:27]
	v_add_f64_e32 v[48:49], v[134:135], v[78:79]
	v_add_f64_e32 v[78:79], v[138:139], v[86:87]
	v_add_f64_e32 v[84:85], v[104:105], v[88:89]
	v_add_f64_e32 v[86:87], v[145:146], v[92:93]
	v_add_f64_e32 v[88:89], v[147:148], v[94:95]
	v_add_f64_e32 v[8:9], v[14:15], v[8:9]
	v_add_f64_e32 v[10:11], v[112:113], v[10:11]
	v_add_f64_e32 v[14:15], v[96:97], v[22:23]
	v_add_f64_e32 v[0:1], v[52:53], v[0:1]
	v_fma_f64 v[22:23], v[80:81], s[18:19], -v[90:91]
	v_fma_f64 v[52:53], v[80:81], s[18:19], v[90:91]
	v_fma_f64 v[90:91], v[80:81], s[2:3], -v[106:107]
	v_add_f64_e32 v[20:21], v[20:21], v[82:83]
	v_fma_f64 v[94:95], v[80:81], s[16:17], -v[108:109]
	v_fma_f64 v[92:93], v[80:81], s[2:3], v[106:107]
	v_fma_f64 v[96:97], v[80:81], s[16:17], v[108:109]
	v_fma_f64 v[104:105], v[80:81], s[6:7], -v[110:111]
	v_fma_f64 v[106:107], v[80:81], s[6:7], v[110:111]
	v_fma_f64 v[108:109], v[80:81], s[12:13], -v[114:115]
	v_fma_f64 v[110:111], v[80:81], s[12:13], v[114:115]
	v_fma_f64 v[112:113], v[80:81], s[10:11], -v[116:117]
	v_fma_f64 v[80:81], v[80:81], s[10:11], v[116:117]
	v_add_f64_e32 v[16:17], v[118:119], v[16:17]
	v_add_f64_e32 v[18:19], v[136:137], v[18:19]
	;; [unrolled: 1-line block ×25, first 2 shown]
	v_add3_u32 v80, v12, v13, v99
	ds_load_b64 v[78:79], v141
	global_wb scope:SCOPE_SE
	s_wait_dscnt 0x0
	s_barrier_signal -1
	v_add_f64_e32 v[14:15], v[20:21], v[62:63]
	s_barrier_wait -1
	global_inv scope:SCOPE_SE
	ds_store_2addr_b64 v80, v[18:19], v[22:23] offset0:34 offset1:51
	ds_store_2addr_b64 v80, v[26:27], v[84:85] offset0:68 offset1:85
	;; [unrolled: 1-line block ×5, first 2 shown]
	ds_store_b64 v80, v[0:1] offset:1632
	ds_store_2addr_b64 v80, v[14:15], v[16:17] offset1:17
	global_wb scope:SCOPE_SE
	s_wait_dscnt 0x0
	s_barrier_signal -1
	s_barrier_wait -1
	global_inv scope:SCOPE_SE
	ds_load_2addr_b64 v[12:15], v140 offset0:85 offset1:221
	ds_load_2addr_b64 v[16:19], v142 offset0:50 offset1:186
	;; [unrolled: 1-line block ×4, first 2 shown]
	ds_load_b64 v[48:49], v141
	ds_load_b64 v[52:53], v140 offset:7752
	s_and_saveexec_b32 s1, s0
	s_cbranch_execz .LBB0_16
; %bb.15:
	v_add_nc_u32_e32 v0, 0x500, v140
	v_add_nc_u32_e32 v1, 0x1300, v140
	ds_load_2addr_b64 v[8:11], v0 offset0:10 offset1:231
	ds_load_2addr_b64 v[0:3], v1 offset0:4 offset1:225
	ds_load_b64 v[102:103], v140 offset:8432
.LBB0_16:
	s_wait_alu 0xfffe
	s_or_b32 exec_lo, exec_lo, s1
	v_add_f64_e32 v[84:85], v[78:79], v[56:57]
	v_add_f64_e64 v[46:47], v[46:47], -v[62:63]
	v_add_f64_e64 v[40:41], v[40:41], -v[64:65]
	v_add_f64_e32 v[56:57], v[56:57], v[32:33]
	v_add_f64_e64 v[42:43], v[42:43], -v[82:83]
	v_add_f64_e64 v[34:35], v[34:35], -v[74:75]
	;; [unrolled: 1-line block ×4, first 2 shown]
	global_wb scope:SCOPE_SE
	s_wait_dscnt 0x0
	s_barrier_signal -1
	s_barrier_wait -1
	global_inv scope:SCOPE_SE
	v_add_f64_e32 v[84:85], v[84:85], v[44:45]
	v_mul_f64_e32 v[64:65], s[36:37], v[46:47]
	v_mul_f64_e32 v[86:87], s[26:27], v[46:47]
	;; [unrolled: 1-line block ×4, first 2 shown]
	v_add_f64_e32 v[44:45], v[44:45], v[4:5]
	v_mul_f64_e32 v[81:82], s[14:15], v[40:41]
	v_mul_f64_e32 v[92:93], s[20:21], v[40:41]
	;; [unrolled: 1-line block ×14, first 2 shown]
	v_add_f64_e32 v[84:85], v[84:85], v[54:55]
	v_fma_f64 v[106:107], v[56:57], s[2:3], v[64:65]
	v_fma_f64 v[110:111], v[56:57], s[10:11], v[86:87]
	;; [unrolled: 1-line block ×3, first 2 shown]
	v_fma_f64 v[88:89], v[56:57], s[12:13], -v[88:89]
	v_fma_f64 v[114:115], v[56:57], s[16:17], v[90:91]
	v_fma_f64 v[90:91], v[56:57], s[16:17], -v[90:91]
	v_add_f64_e32 v[54:55], v[54:55], v[28:29]
	v_fma_f64 v[124:125], v[44:45], s[6:7], v[81:82]
	v_fma_f64 v[81:82], v[44:45], s[6:7], -v[81:82]
	v_fma_f64 v[126:127], v[44:45], s[12:13], v[92:93]
	v_fma_f64 v[92:93], v[44:45], s[12:13], -v[92:93]
	;; [unrolled: 2-line block ×6, first 2 shown]
	v_add_f64_e32 v[62:63], v[84:85], v[58:59]
	v_mul_f64_e32 v[84:85], s[14:15], v[46:47]
	v_mul_f64_e32 v[46:47], s[24:25], v[46:47]
	v_add_f64_e32 v[44:45], v[78:79], v[106:107]
	v_add_f64_e32 v[58:59], v[58:59], v[36:37]
	v_fma_f64 v[144:145], v[54:55], s[18:19], v[74:75]
	v_fma_f64 v[74:75], v[54:55], s[18:19], -v[74:75]
	v_fma_f64 v[146:147], v[54:55], s[12:13], v[118:119]
	v_fma_f64 v[118:119], v[54:55], s[12:13], -v[118:119]
	;; [unrolled: 2-line block ×4, first 2 shown]
	v_add_f64_e32 v[62:63], v[62:63], v[70:71]
	v_fma_f64 v[108:109], v[56:57], s[6:7], v[84:85]
	v_fma_f64 v[83:84], v[56:57], s[6:7], -v[84:85]
	v_fma_f64 v[116:117], v[56:57], s[18:19], v[46:47]
	v_fma_f64 v[46:47], v[56:57], s[18:19], -v[46:47]
	v_fma_f64 v[85:86], v[56:57], s[10:11], -v[86:87]
	;; [unrolled: 1-line block ×3, first 2 shown]
	v_mul_f64_e32 v[64:65], s[26:27], v[42:43]
	v_mul_f64_e32 v[42:43], s[22:23], v[42:43]
	v_add_f64_e32 v[87:88], v[78:79], v[88:89]
	v_add_f64_e32 v[89:90], v[78:79], v[90:91]
	;; [unrolled: 1-line block ×4, first 2 shown]
	v_fma_f64 v[124:125], v[58:59], s[10:11], -v[136:137]
	v_add_f64_e32 v[62:63], v[62:63], v[66:67]
	v_add_f64_e32 v[106:107], v[78:79], v[108:109]
	;; [unrolled: 1-line block ×10, first 2 shown]
	v_mul_f64_e32 v[78:79], s[34:35], v[34:35]
	v_mul_f64_e32 v[116:117], s[30:31], v[34:35]
	;; [unrolled: 1-line block ×3, first 2 shown]
	v_fma_f64 v[142:143], v[54:55], s[10:11], v[64:65]
	v_fma_f64 v[64:65], v[54:55], s[10:11], -v[64:65]
	v_fma_f64 v[152:153], v[54:55], s[16:17], v[42:43]
	v_fma_f64 v[42:43], v[54:55], s[16:17], -v[42:43]
	v_add_f64_e32 v[87:88], v[96:97], v[87:88]
	v_add_f64_e32 v[62:63], v[62:63], v[68:69]
	;; [unrolled: 1-line block ×12, first 2 shown]
	v_mul_f64_e32 v[81:82], s[14:15], v[30:31]
	v_mul_f64_e32 v[89:90], s[38:39], v[30:31]
	;; [unrolled: 1-line block ×3, first 2 shown]
	v_fma_f64 v[104:105], v[58:59], s[12:13], v[76:77]
	v_fma_f64 v[76:77], v[58:59], s[12:13], -v[76:77]
	v_fma_f64 v[110:111], v[58:59], s[16:17], v[78:79]
	v_fma_f64 v[78:79], v[58:59], s[16:17], -v[78:79]
	;; [unrolled: 2-line block ×3, first 2 shown]
	v_fma_f64 v[116:117], v[58:59], s[10:11], v[136:137]
	v_fma_f64 v[126:127], v[58:59], s[18:19], v[138:139]
	v_fma_f64 v[128:129], v[58:59], s[18:19], -v[138:139]
	v_fma_f64 v[130:131], v[58:59], s[6:7], v[34:35]
	v_fma_f64 v[34:35], v[58:59], s[6:7], -v[34:35]
	v_add_f64_e32 v[44:45], v[142:143], v[44:45]
	v_add_f64_e32 v[87:88], v[120:121], v[87:88]
	;; [unrolled: 1-line block ×3, first 2 shown]
	v_mul_f64_e32 v[72:73], s[28:29], v[30:31]
	v_mul_f64_e32 v[30:31], s[20:21], v[30:31]
	v_add_f64_e32 v[54:55], v[144:145], v[54:55]
	v_add_f64_e32 v[58:59], v[74:75], v[83:84]
	;; [unrolled: 1-line block ×10, first 2 shown]
	v_mul_f64_e32 v[64:65], s[24:25], v[38:39]
	v_mul_f64_e32 v[85:86], s[40:41], v[38:39]
	;; [unrolled: 1-line block ×3, first 2 shown]
	v_fma_f64 v[108:109], v[70:71], s[16:17], v[60:61]
	v_fma_f64 v[60:61], v[70:71], s[16:17], -v[60:61]
	v_fma_f64 v[120:121], v[70:71], s[6:7], v[81:82]
	v_fma_f64 v[81:82], v[70:71], s[6:7], -v[81:82]
	;; [unrolled: 2-line block ×4, first 2 shown]
	v_add_f64_e32 v[44:45], v[104:105], v[44:45]
	v_add_f64_e32 v[36:37], v[62:63], v[36:37]
	;; [unrolled: 1-line block ×3, first 2 shown]
	v_mul_f64_e32 v[66:67], s[30:31], v[38:39]
	v_mul_f64_e32 v[68:69], s[22:23], v[38:39]
	;; [unrolled: 1-line block ×3, first 2 shown]
	v_fma_f64 v[118:119], v[70:71], s[10:11], v[72:73]
	v_fma_f64 v[72:73], v[70:71], s[10:11], -v[72:73]
	v_fma_f64 v[134:135], v[70:71], s[12:13], v[30:31]
	v_fma_f64 v[30:31], v[70:71], s[12:13], -v[30:31]
	v_add_f64_e32 v[54:55], v[110:111], v[54:55]
	v_add_f64_e32 v[70:71], v[112:113], v[74:75]
	;; [unrolled: 1-line block ×13, first 2 shown]
	v_fma_f64 v[36:37], v[62:63], s[18:19], v[64:65]
	v_fma_f64 v[56:57], v[62:63], s[18:19], -v[64:65]
	v_fma_f64 v[64:65], v[62:63], s[2:3], v[66:67]
	v_fma_f64 v[66:67], v[62:63], s[2:3], -v[66:67]
	;; [unrolled: 2-line block ×6, first 2 shown]
	v_add_f64_e32 v[54:55], v[118:119], v[54:55]
	v_add_f64_e32 v[62:63], v[120:121], v[70:71]
	;; [unrolled: 1-line block ×24, first 2 shown]
	v_add_nc_u32_e32 v40, 0x800, v140
	v_add_nc_u32_e32 v46, 0x1000, v140
	;; [unrolled: 1-line block ×3, first 2 shown]
	v_add_f64_e32 v[32:33], v[60:61], v[32:33]
	ds_store_2addr_b64 v80, v[44:45], v[54:55] offset0:34 offset1:51
	ds_store_2addr_b64 v80, v[58:59], v[64:65] offset0:68 offset1:85
	;; [unrolled: 1-line block ×5, first 2 shown]
	ds_store_b64 v80, v[4:5] offset:1632
	ds_store_2addr_b64 v80, v[32:33], v[36:37] offset1:17
	global_wb scope:SCOPE_SE
	s_wait_dscnt 0x0
	s_barrier_signal -1
	s_barrier_wait -1
	global_inv scope:SCOPE_SE
	ds_load_2addr_b64 v[32:35], v140 offset0:85 offset1:221
	ds_load_2addr_b64 v[40:43], v40 offset0:50 offset1:186
	;; [unrolled: 1-line block ×4, first 2 shown]
	ds_load_b64 v[56:57], v141
	ds_load_b64 v[58:59], v140 offset:7752
	s_and_saveexec_b32 s1, s0
	s_cbranch_execz .LBB0_18
; %bb.17:
	v_add_nc_u32_e32 v4, 0x500, v140
	v_add_nc_u32_e32 v5, 0x1300, v140
	ds_load_2addr_b64 v[28:31], v4 offset0:10 offset1:231
	ds_load_2addr_b64 v[4:7], v5 offset0:4 offset1:225
	ds_load_b64 v[50:51], v140 offset:8432
.LBB0_18:
	s_wait_alu 0xfffe
	s_or_b32 exec_lo, exec_lo, s1
	s_and_saveexec_b32 s1, vcc_lo
	s_cbranch_execz .LBB0_21
; %bb.19:
	v_add_nc_u32_e32 v99, 0x55, v98
	v_mov_b32_e32 v55, 0
	s_mov_b32 s2, 0x134454ff
	s_mov_b32 s3, 0xbfee6f0e
	;; [unrolled: 1-line block ×3, first 2 shown]
	v_lshlrev_b32_e32 v54, 2, v99
	s_wait_alu 0xfffe
	s_mov_b32 s6, s2
	s_mov_b32 s10, 0x4755a5e
	;; [unrolled: 1-line block ×4, first 2 shown]
	v_lshlrev_b64_e32 v[60:61], 4, v[54:55]
	v_lshlrev_b32_e32 v54, 2, v98
	s_wait_alu 0xfffe
	s_mov_b32 s12, s10
	s_mov_b32 s14, 0x372fe950
	;; [unrolled: 1-line block ×3, first 2 shown]
	v_lshlrev_b64_e32 v[62:63], 4, v[54:55]
	v_add_co_u32 v72, vcc_lo, s4, v60
	s_wait_alu 0xfffd
	v_add_co_ci_u32_e32 v73, vcc_lo, s5, v61, vcc_lo
	v_mul_hi_u32 v54, 0x288b0129, v99
	s_delay_alu instid0(VALU_DEP_4)
	v_add_co_u32 v88, vcc_lo, s4, v62
	s_wait_alu 0xfffd
	v_add_co_ci_u32_e32 v89, vcc_lo, s5, v63, vcc_lo
	s_clause 0x7
	global_load_b128 v[60:63], v[72:73], off offset:3280
	global_load_b128 v[64:67], v[72:73], off offset:3264
	global_load_b128 v[68:71], v[72:73], off offset:3296
	global_load_b128 v[72:75], v[72:73], off offset:3312
	global_load_b128 v[76:79], v[88:89], off offset:3280
	global_load_b128 v[80:83], v[88:89], off offset:3264
	global_load_b128 v[84:87], v[88:89], off offset:3312
	global_load_b128 v[88:91], v[88:89], off offset:3296
	s_wait_loadcnt 0x7
	v_mul_f64_e32 v[92:93], v[20:21], v[62:63]
	s_wait_loadcnt 0x6
	v_mul_f64_e32 v[94:95], v[16:17], v[66:67]
	;; [unrolled: 2-line block ×8, first 2 shown]
	s_wait_dscnt 0x4
	v_mul_f64_e32 v[78:79], v[42:43], v[78:79]
	s_wait_dscnt 0x3
	v_mul_f64_e32 v[90:91], v[38:39], v[90:91]
	v_mul_f64_e32 v[82:83], v[34:35], v[82:83]
	s_wait_dscnt 0x2
	v_mul_f64_e32 v[86:87], v[46:47], v[86:87]
	v_mul_f64_e32 v[62:63], v[36:37], v[62:63]
	;; [unrolled: 1-line block ×4, first 2 shown]
	s_wait_dscnt 0x0
	v_mul_f64_e32 v[74:75], v[58:59], v[74:75]
	v_fma_f64 v[36:37], v[36:37], v[60:61], v[92:93]
	v_fma_f64 v[40:41], v[40:41], v[64:65], v[94:95]
	v_fma_f64 v[44:45], v[44:45], v[68:69], v[96:97]
	v_fma_f64 v[58:59], v[58:59], v[72:73], v[104:105]
	v_fma_f64 v[42:43], v[42:43], v[76:77], v[106:107]
	v_fma_f64 v[34:35], v[34:35], v[80:81], v[108:109]
	v_fma_f64 v[46:47], v[46:47], v[84:85], v[110:111]
	v_fma_f64 v[38:39], v[38:39], v[88:89], v[112:113]
	v_fma_f64 v[18:19], v[18:19], v[76:77], -v[78:79]
	v_fma_f64 v[22:23], v[22:23], v[88:89], -v[90:91]
	;; [unrolled: 1-line block ×8, first 2 shown]
	v_add_f64_e32 v[80:81], v[32:33], v[40:41]
	v_add_f64_e32 v[62:63], v[36:37], v[44:45]
	v_add_f64_e32 v[60:61], v[40:41], v[58:59]
	v_add_f64_e64 v[92:93], v[40:41], -v[58:59]
	v_add_f64_e32 v[86:87], v[56:57], v[34:35]
	v_add_f64_e32 v[64:65], v[34:35], v[46:47]
	v_add_f64_e32 v[66:67], v[42:43], v[38:39]
	v_add_f64_e64 v[94:95], v[44:45], -v[58:59]
	;; [unrolled: 4-line block ×4, first 2 shown]
	v_add_f64_e64 v[90:91], v[18:19], -v[22:23]
	v_add_f64_e64 v[76:77], v[16:17], -v[52:53]
	;; [unrolled: 1-line block ×14, first 2 shown]
	v_fma_f64 v[60:61], v[60:61], -0.5, v[32:33]
	v_fma_f64 v[32:33], v[62:63], -0.5, v[32:33]
	v_fma_f64 v[62:63], v[64:65], -0.5, v[56:57]
	v_fma_f64 v[56:57], v[66:67], -0.5, v[56:57]
	v_add_f64_e64 v[66:67], v[34:35], -v[46:47]
	v_fma_f64 v[68:69], v[68:69], -0.5, v[48:49]
	v_add_f64_e64 v[64:65], v[42:43], -v[38:39]
	v_fma_f64 v[48:49], v[70:71], -0.5, v[48:49]
	;; [unrolled: 2-line block ×4, first 2 shown]
	v_add_f64_e64 v[74:75], v[36:37], -v[40:41]
	v_add_f64_e64 v[40:41], v[40:41], -v[36:37]
	v_add_f64_e32 v[36:37], v[36:37], v[80:81]
	v_add_f64_e32 v[20:21], v[20:21], v[82:83]
	v_add_f64_e32 v[42:43], v[42:43], v[86:87]
	v_add_f64_e32 v[18:19], v[18:19], v[88:89]
	v_fma_f64 v[80:81], v[78:79], s[2:3], v[60:61]
	v_fma_f64 v[60:61], v[78:79], s[6:7], v[60:61]
	;; [unrolled: 1-line block ×16, first 2 shown]
	v_add_f64_e32 v[74:75], v[74:75], v[94:95]
	v_add_f64_e32 v[94:95], v[40:41], v[96:97]
	;; [unrolled: 1-line block ×12, first 2 shown]
	v_sub_nc_u32_e32 v16, v99, v54
	v_mov_b32_e32 v99, v55
	v_fma_f64 v[22:23], v[76:77], s[10:11], v[80:81]
	s_wait_alu 0xfffe
	v_fma_f64 v[34:35], v[76:77], s[12:13], v[60:61]
	v_fma_f64 v[36:37], v[78:79], s[10:11], v[82:83]
	;; [unrolled: 1-line block ×15, first 2 shown]
	v_lshrrev_b32_e32 v72, 1, v16
	v_add_f64_e32 v[16:17], v[14:15], v[58:59]
	v_add_f64_e32 v[14:15], v[20:21], v[52:53]
	;; [unrolled: 1-line block ×4, first 2 shown]
	v_fma_f64 v[24:25], v[74:75], s[14:15], v[22:23]
	v_fma_f64 v[34:35], v[74:75], s[14:15], v[34:35]
	;; [unrolled: 1-line block ×16, first 2 shown]
	v_add_nc_u32_e32 v12, v72, v54
	v_add_co_u32 v48, vcc_lo, s8, v100
	s_wait_alu 0xfffd
	v_add_co_ci_u32_e32 v49, vcc_lo, s9, v101, vcc_lo
	s_delay_alu instid0(VALU_DEP_3) | instskip(SKIP_1) | instid1(VALU_DEP_2)
	v_lshrrev_b32_e32 v26, 7, v12
	v_lshlrev_b64_e32 v[12:13], 4, v[98:99]
	v_mul_u32_u24_e32 v54, 0x374, v26
	s_delay_alu instid0(VALU_DEP_2) | instskip(SKIP_1) | instid1(VALU_DEP_3)
	v_add_co_u32 v12, vcc_lo, v48, v12
	s_wait_alu 0xfffd
	v_add_co_ci_u32_e32 v13, vcc_lo, v49, v13, vcc_lo
	s_delay_alu instid0(VALU_DEP_3) | instskip(NEXT) | instid1(VALU_DEP_1)
	v_lshlrev_b64_e32 v[26:27], 4, v[54:55]
	v_add_co_u32 v26, vcc_lo, v12, v26
	s_wait_alu 0xfffd
	s_delay_alu instid0(VALU_DEP_2)
	v_add_co_ci_u32_e32 v27, vcc_lo, v13, v27, vcc_lo
	s_clause 0x9
	global_store_b128 v[12:13], v[18:21], off
	global_store_b128 v[12:13], v[60:63], off offset:3536
	global_store_b128 v[12:13], v[44:47], off offset:7072
	global_store_b128 v[12:13], v[40:43], off offset:10608
	global_store_b128 v[12:13], v[56:59], off offset:14144
	global_store_b128 v[26:27], v[14:17], off offset:1360
	global_store_b128 v[26:27], v[64:67], off offset:4896
	global_store_b128 v[26:27], v[32:35], off offset:8432
	global_store_b128 v[26:27], v[22:25], off offset:11968
	global_store_b128 v[26:27], v[36:39], off offset:15504
	s_and_b32 exec_lo, exec_lo, s0
	s_cbranch_execz .LBB0_21
; %bb.20:
	v_mov_b32_e32 v14, 0xaa
	s_delay_alu instid0(VALU_DEP_1) | instskip(NEXT) | instid1(VALU_DEP_1)
	v_cndmask_b32_e64 v14, 0xffffffcd, v14, s0
	v_add_lshl_u32 v54, v98, v14, 2
	s_delay_alu instid0(VALU_DEP_1) | instskip(NEXT) | instid1(VALU_DEP_1)
	v_lshlrev_b64_e32 v[14:15], 4, v[54:55]
	v_add_co_u32 v26, vcc_lo, s4, v14
	s_wait_alu 0xfffd
	s_delay_alu instid0(VALU_DEP_2)
	v_add_co_ci_u32_e32 v27, vcc_lo, s5, v15, vcc_lo
	s_clause 0x3
	global_load_b128 v[14:17], v[26:27], off offset:3264
	global_load_b128 v[18:21], v[26:27], off offset:3280
	;; [unrolled: 1-line block ×4, first 2 shown]
	s_wait_loadcnt 0x3
	v_mul_f64_e32 v[26:27], v[30:31], v[16:17]
	s_wait_loadcnt 0x2
	v_mul_f64_e32 v[36:37], v[4:5], v[20:21]
	;; [unrolled: 2-line block ×3, first 2 shown]
	v_mul_f64_e32 v[20:21], v[0:1], v[20:21]
	v_mul_f64_e32 v[24:25], v[2:3], v[24:25]
	;; [unrolled: 1-line block ×3, first 2 shown]
	s_wait_loadcnt 0x0
	v_mul_f64_e32 v[40:41], v[50:51], v[34:35]
	v_mul_f64_e32 v[34:35], v[102:103], v[34:35]
	v_fma_f64 v[10:11], v[10:11], v[14:15], -v[26:27]
	v_fma_f64 v[0:1], v[0:1], v[18:19], -v[36:37]
	;; [unrolled: 1-line block ×3, first 2 shown]
	v_fma_f64 v[4:5], v[4:5], v[18:19], v[20:21]
	v_fma_f64 v[6:7], v[6:7], v[22:23], v[24:25]
	;; [unrolled: 1-line block ×3, first 2 shown]
	v_fma_f64 v[16:17], v[102:103], v[32:33], -v[40:41]
	v_fma_f64 v[18:19], v[50:51], v[32:33], v[34:35]
	v_add_f64_e32 v[30:31], v[8:9], v[10:11]
	v_add_f64_e32 v[20:21], v[0:1], v[2:3]
	v_add_f64_e32 v[24:25], v[4:5], v[6:7]
	v_add_f64_e32 v[36:37], v[28:29], v[14:15]
	v_add_f64_e32 v[22:23], v[10:11], v[16:17]
	v_add_f64_e32 v[26:27], v[14:15], v[18:19]
	v_add_f64_e64 v[32:33], v[14:15], -v[18:19]
	v_add_f64_e64 v[38:39], v[10:11], -v[16:17]
	v_add_f64_e64 v[34:35], v[4:5], -v[6:7]
	v_add_f64_e64 v[44:45], v[14:15], -v[4:5]
	v_add_f64_e64 v[14:15], v[4:5], -v[14:15]
	v_add_f64_e64 v[40:41], v[16:17], -v[2:3]
	v_add_f64_e64 v[46:47], v[18:19], -v[6:7]
	v_add_f64_e64 v[42:43], v[2:3], -v[16:17]
	v_add_f64_e64 v[48:49], v[6:7], -v[18:19]
	v_fma_f64 v[20:21], v[20:21], -0.5, v[8:9]
	v_fma_f64 v[24:25], v[24:25], -0.5, v[28:29]
	v_add_f64_e32 v[4:5], v[36:37], v[4:5]
	v_fma_f64 v[8:9], v[22:23], -0.5, v[8:9]
	v_add_f64_e64 v[22:23], v[0:1], -v[2:3]
	v_fma_f64 v[26:27], v[26:27], -0.5, v[28:29]
	v_add_f64_e64 v[28:29], v[10:11], -v[0:1]
	v_add_f64_e64 v[10:11], v[0:1], -v[10:11]
	v_add_f64_e32 v[0:1], v[30:31], v[0:1]
	v_fma_f64 v[30:31], v[32:33], s[6:7], v[20:21]
	v_fma_f64 v[20:21], v[32:33], s[2:3], v[20:21]
	;; [unrolled: 1-line block ×8, first 2 shown]
	v_add_f64_e32 v[28:29], v[28:29], v[40:41]
	v_add_f64_e32 v[0:1], v[0:1], v[2:3]
	;; [unrolled: 1-line block ×6, first 2 shown]
	v_fma_f64 v[4:5], v[34:35], s[10:11], v[30:31]
	v_fma_f64 v[6:7], v[34:35], s[12:13], v[20:21]
	;; [unrolled: 1-line block ×8, first 2 shown]
	v_add_f64_e32 v[0:1], v[0:1], v[16:17]
	v_add_f64_e32 v[2:3], v[2:3], v[18:19]
	v_fma_f64 v[4:5], v[28:29], s[14:15], v[4:5]
	v_fma_f64 v[8:9], v[28:29], s[14:15], v[6:7]
	;; [unrolled: 1-line block ×8, first 2 shown]
	s_clause 0x4
	global_store_b128 v[12:13], v[0:3], off offset:2720
	global_store_b128 v[12:13], v[4:7], off offset:6256
	;; [unrolled: 1-line block ×5, first 2 shown]
.LBB0_21:
	s_nop 0
	s_sendmsg sendmsg(MSG_DEALLOC_VGPRS)
	s_endpgm
	.section	.rodata,"a",@progbits
	.p2align	6, 0x0
	.amdhsa_kernel fft_rtc_fwd_len1105_factors_17_13_5_wgs_255_tpt_85_halfLds_dp_ip_CI_unitstride_sbrr_dirReg
		.amdhsa_group_segment_fixed_size 0
		.amdhsa_private_segment_fixed_size 0
		.amdhsa_kernarg_size 88
		.amdhsa_user_sgpr_count 2
		.amdhsa_user_sgpr_dispatch_ptr 0
		.amdhsa_user_sgpr_queue_ptr 0
		.amdhsa_user_sgpr_kernarg_segment_ptr 1
		.amdhsa_user_sgpr_dispatch_id 0
		.amdhsa_user_sgpr_private_segment_size 0
		.amdhsa_wavefront_size32 1
		.amdhsa_uses_dynamic_stack 0
		.amdhsa_enable_private_segment 0
		.amdhsa_system_sgpr_workgroup_id_x 1
		.amdhsa_system_sgpr_workgroup_id_y 0
		.amdhsa_system_sgpr_workgroup_id_z 0
		.amdhsa_system_sgpr_workgroup_info 0
		.amdhsa_system_vgpr_workitem_id 0
		.amdhsa_next_free_vgpr 209
		.amdhsa_next_free_sgpr 62
		.amdhsa_reserve_vcc 1
		.amdhsa_float_round_mode_32 0
		.amdhsa_float_round_mode_16_64 0
		.amdhsa_float_denorm_mode_32 3
		.amdhsa_float_denorm_mode_16_64 3
		.amdhsa_fp16_overflow 0
		.amdhsa_workgroup_processor_mode 1
		.amdhsa_memory_ordered 1
		.amdhsa_forward_progress 0
		.amdhsa_round_robin_scheduling 0
		.amdhsa_exception_fp_ieee_invalid_op 0
		.amdhsa_exception_fp_denorm_src 0
		.amdhsa_exception_fp_ieee_div_zero 0
		.amdhsa_exception_fp_ieee_overflow 0
		.amdhsa_exception_fp_ieee_underflow 0
		.amdhsa_exception_fp_ieee_inexact 0
		.amdhsa_exception_int_div_zero 0
	.end_amdhsa_kernel
	.text
.Lfunc_end0:
	.size	fft_rtc_fwd_len1105_factors_17_13_5_wgs_255_tpt_85_halfLds_dp_ip_CI_unitstride_sbrr_dirReg, .Lfunc_end0-fft_rtc_fwd_len1105_factors_17_13_5_wgs_255_tpt_85_halfLds_dp_ip_CI_unitstride_sbrr_dirReg
                                        ; -- End function
	.section	.AMDGPU.csdata,"",@progbits
; Kernel info:
; codeLenInByte = 12656
; NumSgprs: 64
; NumVgprs: 209
; ScratchSize: 0
; MemoryBound: 1
; FloatMode: 240
; IeeeMode: 1
; LDSByteSize: 0 bytes/workgroup (compile time only)
; SGPRBlocks: 7
; VGPRBlocks: 26
; NumSGPRsForWavesPerEU: 64
; NumVGPRsForWavesPerEU: 209
; Occupancy: 7
; WaveLimiterHint : 1
; COMPUTE_PGM_RSRC2:SCRATCH_EN: 0
; COMPUTE_PGM_RSRC2:USER_SGPR: 2
; COMPUTE_PGM_RSRC2:TRAP_HANDLER: 0
; COMPUTE_PGM_RSRC2:TGID_X_EN: 1
; COMPUTE_PGM_RSRC2:TGID_Y_EN: 0
; COMPUTE_PGM_RSRC2:TGID_Z_EN: 0
; COMPUTE_PGM_RSRC2:TIDIG_COMP_CNT: 0
	.text
	.p2alignl 7, 3214868480
	.fill 96, 4, 3214868480
	.type	__hip_cuid_663491aab2c2a068,@object ; @__hip_cuid_663491aab2c2a068
	.section	.bss,"aw",@nobits
	.globl	__hip_cuid_663491aab2c2a068
__hip_cuid_663491aab2c2a068:
	.byte	0                               ; 0x0
	.size	__hip_cuid_663491aab2c2a068, 1

	.ident	"AMD clang version 19.0.0git (https://github.com/RadeonOpenCompute/llvm-project roc-6.4.0 25133 c7fe45cf4b819c5991fe208aaa96edf142730f1d)"
	.section	".note.GNU-stack","",@progbits
	.addrsig
	.addrsig_sym __hip_cuid_663491aab2c2a068
	.amdgpu_metadata
---
amdhsa.kernels:
  - .args:
      - .actual_access:  read_only
        .address_space:  global
        .offset:         0
        .size:           8
        .value_kind:     global_buffer
      - .offset:         8
        .size:           8
        .value_kind:     by_value
      - .actual_access:  read_only
        .address_space:  global
        .offset:         16
        .size:           8
        .value_kind:     global_buffer
      - .actual_access:  read_only
        .address_space:  global
        .offset:         24
        .size:           8
        .value_kind:     global_buffer
      - .offset:         32
        .size:           8
        .value_kind:     by_value
      - .actual_access:  read_only
        .address_space:  global
        .offset:         40
        .size:           8
        .value_kind:     global_buffer
      - .actual_access:  read_only
        .address_space:  global
        .offset:         48
        .size:           8
        .value_kind:     global_buffer
      - .offset:         56
        .size:           4
        .value_kind:     by_value
      - .actual_access:  read_only
        .address_space:  global
        .offset:         64
        .size:           8
        .value_kind:     global_buffer
      - .actual_access:  read_only
        .address_space:  global
        .offset:         72
        .size:           8
        .value_kind:     global_buffer
      - .address_space:  global
        .offset:         80
        .size:           8
        .value_kind:     global_buffer
    .group_segment_fixed_size: 0
    .kernarg_segment_align: 8
    .kernarg_segment_size: 88
    .language:       OpenCL C
    .language_version:
      - 2
      - 0
    .max_flat_workgroup_size: 255
    .name:           fft_rtc_fwd_len1105_factors_17_13_5_wgs_255_tpt_85_halfLds_dp_ip_CI_unitstride_sbrr_dirReg
    .private_segment_fixed_size: 0
    .sgpr_count:     64
    .sgpr_spill_count: 0
    .symbol:         fft_rtc_fwd_len1105_factors_17_13_5_wgs_255_tpt_85_halfLds_dp_ip_CI_unitstride_sbrr_dirReg.kd
    .uniform_work_group_size: 1
    .uses_dynamic_stack: false
    .vgpr_count:     209
    .vgpr_spill_count: 0
    .wavefront_size: 32
    .workgroup_processor_mode: 1
amdhsa.target:   amdgcn-amd-amdhsa--gfx1201
amdhsa.version:
  - 1
  - 2
...

	.end_amdgpu_metadata
